;; amdgpu-corpus repo=ROCm/rocFFT kind=compiled arch=gfx1201 opt=O3
	.text
	.amdgcn_target "amdgcn-amd-amdhsa--gfx1201"
	.amdhsa_code_object_version 6
	.protected	fft_rtc_back_len2560_factors_4_4_4_10_4_wgs_128_tpt_128_halfLds_half_op_CI_CI_unitstride_sbrr_R2C_dirReg ; -- Begin function fft_rtc_back_len2560_factors_4_4_4_10_4_wgs_128_tpt_128_halfLds_half_op_CI_CI_unitstride_sbrr_R2C_dirReg
	.globl	fft_rtc_back_len2560_factors_4_4_4_10_4_wgs_128_tpt_128_halfLds_half_op_CI_CI_unitstride_sbrr_R2C_dirReg
	.p2align	8
	.type	fft_rtc_back_len2560_factors_4_4_4_10_4_wgs_128_tpt_128_halfLds_half_op_CI_CI_unitstride_sbrr_R2C_dirReg,@function
fft_rtc_back_len2560_factors_4_4_4_10_4_wgs_128_tpt_128_halfLds_half_op_CI_CI_unitstride_sbrr_R2C_dirReg: ; @fft_rtc_back_len2560_factors_4_4_4_10_4_wgs_128_tpt_128_halfLds_half_op_CI_CI_unitstride_sbrr_R2C_dirReg
; %bb.0:
	s_clause 0x2
	s_load_b128 s[8:11], s[0:1], 0x0
	s_load_b128 s[4:7], s[0:1], 0x58
	;; [unrolled: 1-line block ×3, first 2 shown]
	v_mov_b32_e32 v3, 0
	v_mov_b32_e32 v1, 0
	v_dual_mov_b32 v2, 0 :: v_dual_mov_b32 v5, ttmp9
	s_mov_b32 s3, 0
	s_delay_alu instid0(VALU_DEP_3) | instskip(SKIP_2) | instid1(VALU_DEP_1)
	v_mov_b32_e32 v6, v3
	s_wait_kmcnt 0x0
	v_cmp_lt_u64_e64 s2, s[10:11], 2
	s_and_b32 vcc_lo, exec_lo, s2
	s_cbranch_vccnz .LBB0_8
; %bb.1:
	s_load_b64 s[20:21], s[0:1], 0x10
	v_mov_b32_e32 v1, 0
	v_mov_b32_e32 v2, 0
	s_add_nc_u64 s[16:17], s[14:15], 8
	s_add_nc_u64 s[18:19], s[12:13], 8
	s_mov_b64 s[22:23], 1
	s_delay_alu instid0(VALU_DEP_1)
	v_dual_mov_b32 v10, v2 :: v_dual_mov_b32 v9, v1
	s_wait_kmcnt 0x0
	s_add_nc_u64 s[20:21], s[20:21], 8
.LBB0_2:                                ; =>This Inner Loop Header: Depth=1
	s_load_b64 s[24:25], s[20:21], 0x0
                                        ; implicit-def: $vgpr13_vgpr14
	s_mov_b32 s2, exec_lo
	s_wait_kmcnt 0x0
	v_or_b32_e32 v4, s25, v6
	s_delay_alu instid0(VALU_DEP_1)
	v_cmpx_ne_u64_e32 0, v[3:4]
	s_wait_alu 0xfffe
	s_xor_b32 s26, exec_lo, s2
	s_cbranch_execz .LBB0_4
; %bb.3:                                ;   in Loop: Header=BB0_2 Depth=1
	s_cvt_f32_u32 s2, s24
	s_cvt_f32_u32 s27, s25
	s_sub_nc_u64 s[30:31], 0, s[24:25]
	s_wait_alu 0xfffe
	s_delay_alu instid0(SALU_CYCLE_1) | instskip(SKIP_1) | instid1(SALU_CYCLE_2)
	s_fmamk_f32 s2, s27, 0x4f800000, s2
	s_wait_alu 0xfffe
	v_s_rcp_f32 s2, s2
	s_delay_alu instid0(TRANS32_DEP_1) | instskip(SKIP_1) | instid1(SALU_CYCLE_2)
	s_mul_f32 s2, s2, 0x5f7ffffc
	s_wait_alu 0xfffe
	s_mul_f32 s27, s2, 0x2f800000
	s_wait_alu 0xfffe
	s_delay_alu instid0(SALU_CYCLE_2) | instskip(SKIP_1) | instid1(SALU_CYCLE_2)
	s_trunc_f32 s27, s27
	s_wait_alu 0xfffe
	s_fmamk_f32 s2, s27, 0xcf800000, s2
	s_cvt_u32_f32 s29, s27
	s_wait_alu 0xfffe
	s_delay_alu instid0(SALU_CYCLE_1) | instskip(SKIP_1) | instid1(SALU_CYCLE_2)
	s_cvt_u32_f32 s28, s2
	s_wait_alu 0xfffe
	s_mul_u64 s[34:35], s[30:31], s[28:29]
	s_wait_alu 0xfffe
	s_mul_hi_u32 s37, s28, s35
	s_mul_i32 s36, s28, s35
	s_mul_hi_u32 s2, s28, s34
	s_mul_i32 s33, s29, s34
	s_wait_alu 0xfffe
	s_add_nc_u64 s[36:37], s[2:3], s[36:37]
	s_mul_hi_u32 s27, s29, s34
	s_mul_hi_u32 s38, s29, s35
	s_add_co_u32 s2, s36, s33
	s_wait_alu 0xfffe
	s_add_co_ci_u32 s2, s37, s27
	s_mul_i32 s34, s29, s35
	s_add_co_ci_u32 s35, s38, 0
	s_wait_alu 0xfffe
	s_add_nc_u64 s[34:35], s[2:3], s[34:35]
	s_wait_alu 0xfffe
	v_add_co_u32 v4, s2, s28, s34
	s_delay_alu instid0(VALU_DEP_1) | instskip(SKIP_1) | instid1(VALU_DEP_1)
	s_cmp_lg_u32 s2, 0
	s_add_co_ci_u32 s29, s29, s35
	v_readfirstlane_b32 s28, v4
	s_wait_alu 0xfffe
	s_delay_alu instid0(VALU_DEP_1)
	s_mul_u64 s[30:31], s[30:31], s[28:29]
	s_wait_alu 0xfffe
	s_mul_hi_u32 s35, s28, s31
	s_mul_i32 s34, s28, s31
	s_mul_hi_u32 s2, s28, s30
	s_mul_i32 s33, s29, s30
	s_wait_alu 0xfffe
	s_add_nc_u64 s[34:35], s[2:3], s[34:35]
	s_mul_hi_u32 s27, s29, s30
	s_mul_hi_u32 s28, s29, s31
	s_wait_alu 0xfffe
	s_add_co_u32 s2, s34, s33
	s_add_co_ci_u32 s2, s35, s27
	s_mul_i32 s30, s29, s31
	s_add_co_ci_u32 s31, s28, 0
	s_wait_alu 0xfffe
	s_add_nc_u64 s[30:31], s[2:3], s[30:31]
	s_wait_alu 0xfffe
	v_add_co_u32 v4, s2, v4, s30
	s_delay_alu instid0(VALU_DEP_1) | instskip(SKIP_1) | instid1(VALU_DEP_1)
	s_cmp_lg_u32 s2, 0
	s_add_co_ci_u32 s2, s29, s31
	v_mul_hi_u32 v15, v5, v4
	s_wait_alu 0xfffe
	v_mad_co_u64_u32 v[7:8], null, v5, s2, 0
	v_mad_co_u64_u32 v[11:12], null, v6, v4, 0
	;; [unrolled: 1-line block ×3, first 2 shown]
	s_delay_alu instid0(VALU_DEP_3) | instskip(SKIP_1) | instid1(VALU_DEP_4)
	v_add_co_u32 v4, vcc_lo, v15, v7
	s_wait_alu 0xfffd
	v_add_co_ci_u32_e32 v7, vcc_lo, 0, v8, vcc_lo
	s_delay_alu instid0(VALU_DEP_2) | instskip(SKIP_1) | instid1(VALU_DEP_2)
	v_add_co_u32 v4, vcc_lo, v4, v11
	s_wait_alu 0xfffd
	v_add_co_ci_u32_e32 v4, vcc_lo, v7, v12, vcc_lo
	s_wait_alu 0xfffd
	v_add_co_ci_u32_e32 v7, vcc_lo, 0, v14, vcc_lo
	s_delay_alu instid0(VALU_DEP_2) | instskip(SKIP_1) | instid1(VALU_DEP_2)
	v_add_co_u32 v4, vcc_lo, v4, v13
	s_wait_alu 0xfffd
	v_add_co_ci_u32_e32 v11, vcc_lo, 0, v7, vcc_lo
	s_delay_alu instid0(VALU_DEP_2) | instskip(SKIP_1) | instid1(VALU_DEP_3)
	v_mul_lo_u32 v12, s25, v4
	v_mad_co_u64_u32 v[7:8], null, s24, v4, 0
	v_mul_lo_u32 v13, s24, v11
	s_delay_alu instid0(VALU_DEP_2) | instskip(NEXT) | instid1(VALU_DEP_2)
	v_sub_co_u32 v7, vcc_lo, v5, v7
	v_add3_u32 v8, v8, v13, v12
	s_delay_alu instid0(VALU_DEP_1) | instskip(SKIP_1) | instid1(VALU_DEP_1)
	v_sub_nc_u32_e32 v12, v6, v8
	s_wait_alu 0xfffd
	v_subrev_co_ci_u32_e64 v12, s2, s25, v12, vcc_lo
	v_add_co_u32 v13, s2, v4, 2
	s_wait_alu 0xf1ff
	v_add_co_ci_u32_e64 v14, s2, 0, v11, s2
	v_sub_co_u32 v15, s2, v7, s24
	v_sub_co_ci_u32_e32 v8, vcc_lo, v6, v8, vcc_lo
	s_wait_alu 0xf1ff
	v_subrev_co_ci_u32_e64 v12, s2, 0, v12, s2
	s_delay_alu instid0(VALU_DEP_3) | instskip(NEXT) | instid1(VALU_DEP_3)
	v_cmp_le_u32_e32 vcc_lo, s24, v15
	v_cmp_eq_u32_e64 s2, s25, v8
	s_wait_alu 0xfffd
	v_cndmask_b32_e64 v15, 0, -1, vcc_lo
	v_cmp_le_u32_e32 vcc_lo, s25, v12
	s_wait_alu 0xfffd
	v_cndmask_b32_e64 v16, 0, -1, vcc_lo
	v_cmp_le_u32_e32 vcc_lo, s24, v7
	;; [unrolled: 3-line block ×3, first 2 shown]
	s_wait_alu 0xfffd
	v_cndmask_b32_e64 v17, 0, -1, vcc_lo
	v_cmp_eq_u32_e32 vcc_lo, s25, v12
	s_wait_alu 0xf1ff
	s_delay_alu instid0(VALU_DEP_2)
	v_cndmask_b32_e64 v7, v17, v7, s2
	s_wait_alu 0xfffd
	v_cndmask_b32_e32 v12, v16, v15, vcc_lo
	v_add_co_u32 v15, vcc_lo, v4, 1
	s_wait_alu 0xfffd
	v_add_co_ci_u32_e32 v16, vcc_lo, 0, v11, vcc_lo
	s_delay_alu instid0(VALU_DEP_3) | instskip(SKIP_1) | instid1(VALU_DEP_2)
	v_cmp_ne_u32_e32 vcc_lo, 0, v12
	s_wait_alu 0xfffd
	v_cndmask_b32_e32 v8, v16, v14, vcc_lo
	v_cndmask_b32_e32 v12, v15, v13, vcc_lo
	v_cmp_ne_u32_e32 vcc_lo, 0, v7
	s_wait_alu 0xfffd
	s_delay_alu instid0(VALU_DEP_3) | instskip(NEXT) | instid1(VALU_DEP_3)
	v_cndmask_b32_e32 v14, v11, v8, vcc_lo
	v_cndmask_b32_e32 v13, v4, v12, vcc_lo
.LBB0_4:                                ;   in Loop: Header=BB0_2 Depth=1
	s_wait_alu 0xfffe
	s_and_not1_saveexec_b32 s2, s26
	s_cbranch_execz .LBB0_6
; %bb.5:                                ;   in Loop: Header=BB0_2 Depth=1
	v_cvt_f32_u32_e32 v4, s24
	s_sub_co_i32 s26, 0, s24
	v_mov_b32_e32 v14, v3
	s_delay_alu instid0(VALU_DEP_2) | instskip(NEXT) | instid1(TRANS32_DEP_1)
	v_rcp_iflag_f32_e32 v4, v4
	v_mul_f32_e32 v4, 0x4f7ffffe, v4
	s_delay_alu instid0(VALU_DEP_1) | instskip(SKIP_1) | instid1(VALU_DEP_1)
	v_cvt_u32_f32_e32 v4, v4
	s_wait_alu 0xfffe
	v_mul_lo_u32 v7, s26, v4
	s_delay_alu instid0(VALU_DEP_1) | instskip(NEXT) | instid1(VALU_DEP_1)
	v_mul_hi_u32 v7, v4, v7
	v_add_nc_u32_e32 v4, v4, v7
	s_delay_alu instid0(VALU_DEP_1) | instskip(NEXT) | instid1(VALU_DEP_1)
	v_mul_hi_u32 v4, v5, v4
	v_mul_lo_u32 v7, v4, s24
	v_add_nc_u32_e32 v8, 1, v4
	s_delay_alu instid0(VALU_DEP_2) | instskip(NEXT) | instid1(VALU_DEP_1)
	v_sub_nc_u32_e32 v7, v5, v7
	v_subrev_nc_u32_e32 v11, s24, v7
	v_cmp_le_u32_e32 vcc_lo, s24, v7
	s_wait_alu 0xfffd
	s_delay_alu instid0(VALU_DEP_2) | instskip(NEXT) | instid1(VALU_DEP_1)
	v_dual_cndmask_b32 v7, v7, v11 :: v_dual_cndmask_b32 v4, v4, v8
	v_cmp_le_u32_e32 vcc_lo, s24, v7
	s_delay_alu instid0(VALU_DEP_2) | instskip(SKIP_1) | instid1(VALU_DEP_1)
	v_add_nc_u32_e32 v8, 1, v4
	s_wait_alu 0xfffd
	v_cndmask_b32_e32 v13, v4, v8, vcc_lo
.LBB0_6:                                ;   in Loop: Header=BB0_2 Depth=1
	s_wait_alu 0xfffe
	s_or_b32 exec_lo, exec_lo, s2
	v_mul_lo_u32 v4, v14, s24
	s_delay_alu instid0(VALU_DEP_2)
	v_mul_lo_u32 v11, v13, s25
	s_load_b64 s[26:27], s[18:19], 0x0
	v_mad_co_u64_u32 v[7:8], null, v13, s24, 0
	s_load_b64 s[24:25], s[16:17], 0x0
	s_add_nc_u64 s[22:23], s[22:23], 1
	s_add_nc_u64 s[16:17], s[16:17], 8
	s_wait_alu 0xfffe
	v_cmp_ge_u64_e64 s2, s[22:23], s[10:11]
	s_add_nc_u64 s[18:19], s[18:19], 8
	s_add_nc_u64 s[20:21], s[20:21], 8
	v_add3_u32 v4, v8, v11, v4
	v_sub_co_u32 v5, vcc_lo, v5, v7
	s_wait_alu 0xfffd
	s_delay_alu instid0(VALU_DEP_2) | instskip(SKIP_2) | instid1(VALU_DEP_1)
	v_sub_co_ci_u32_e32 v4, vcc_lo, v6, v4, vcc_lo
	s_and_b32 vcc_lo, exec_lo, s2
	s_wait_kmcnt 0x0
	v_mul_lo_u32 v6, s26, v4
	v_mul_lo_u32 v7, s27, v5
	v_mad_co_u64_u32 v[1:2], null, s26, v5, v[1:2]
	v_mul_lo_u32 v4, s24, v4
	v_mul_lo_u32 v8, s25, v5
	v_mad_co_u64_u32 v[9:10], null, s24, v5, v[9:10]
	s_delay_alu instid0(VALU_DEP_4) | instskip(NEXT) | instid1(VALU_DEP_2)
	v_add3_u32 v2, v7, v2, v6
	v_add3_u32 v10, v8, v10, v4
	s_wait_alu 0xfffe
	s_cbranch_vccnz .LBB0_9
; %bb.7:                                ;   in Loop: Header=BB0_2 Depth=1
	v_dual_mov_b32 v5, v13 :: v_dual_mov_b32 v6, v14
	s_branch .LBB0_2
.LBB0_8:
	v_dual_mov_b32 v10, v2 :: v_dual_mov_b32 v9, v1
	v_dual_mov_b32 v14, v6 :: v_dual_mov_b32 v13, v5
.LBB0_9:
	s_load_b64 s[0:1], s[0:1], 0x28
	v_or_b32_e32 v11, 0x80, v0
	v_or_b32_e32 v17, 0x100, v0
	;; [unrolled: 1-line block ×4, first 2 shown]
	s_lshl_b64 s[10:11], s[10:11], 3
	s_wait_kmcnt 0x0
	v_cmp_gt_u64_e32 vcc_lo, s[0:1], v[13:14]
	v_cmp_le_u64_e64 s0, s[0:1], v[13:14]
	s_delay_alu instid0(VALU_DEP_1)
	s_and_saveexec_b32 s1, s0
	s_wait_alu 0xfffe
	s_xor_b32 s0, exec_lo, s1
; %bb.10:
	v_or_b32_e32 v11, 0x80, v0
	v_or_b32_e32 v17, 0x100, v0
	;; [unrolled: 1-line block ×4, first 2 shown]
                                        ; implicit-def: $vgpr1_vgpr2
; %bb.11:
	s_wait_alu 0xfffe
	s_or_saveexec_b32 s1, s0
	s_add_nc_u64 s[2:3], s[14:15], s[10:11]
	s_wait_alu 0xfffe
	s_xor_b32 exec_lo, exec_lo, s1
	s_cbranch_execz .LBB0_13
; %bb.12:
	s_add_nc_u64 s[10:11], s[12:13], s[10:11]
	v_lshlrev_b64_e32 v[1:2], 2, v[1:2]
	s_load_b64 s[10:11], s[10:11], 0x0
	v_lshlrev_b32_e32 v7, 2, v0
	s_delay_alu instid0(VALU_DEP_1)
	v_or_b32_e32 v8, 0xe00, v7
	v_or_b32_e32 v12, 0x1e00, v7
	s_wait_kmcnt 0x0
	v_mul_lo_u32 v5, s11, v13
	v_mul_lo_u32 v6, s10, v14
	v_mad_co_u64_u32 v[3:4], null, s10, v13, 0
	s_delay_alu instid0(VALU_DEP_1) | instskip(NEXT) | instid1(VALU_DEP_1)
	v_add3_u32 v4, v4, v6, v5
	v_lshlrev_b64_e32 v[3:4], 2, v[3:4]
	s_delay_alu instid0(VALU_DEP_1) | instskip(SKIP_1) | instid1(VALU_DEP_2)
	v_add_co_u32 v3, s0, s4, v3
	s_wait_alu 0xf1ff
	v_add_co_ci_u32_e64 v4, s0, s5, v4, s0
	s_delay_alu instid0(VALU_DEP_2) | instskip(SKIP_1) | instid1(VALU_DEP_2)
	v_add_co_u32 v5, s0, v3, v1
	s_wait_alu 0xf1ff
	v_add_co_ci_u32_e64 v6, s0, v4, v2, s0
	s_delay_alu instid0(VALU_DEP_2) | instskip(SKIP_1) | instid1(VALU_DEP_2)
	v_add_co_u32 v1, s0, v5, v7
	s_wait_alu 0xf1ff
	v_add_co_ci_u32_e64 v2, s0, 0, v6, s0
	v_add_co_u32 v3, s0, v5, v8
	s_wait_alu 0xf1ff
	v_add_co_ci_u32_e64 v4, s0, 0, v6, s0
	;; [unrolled: 3-line block ×3, first 2 shown]
	s_clause 0x13
	global_load_b32 v18, v[1:2], off
	global_load_b32 v19, v[1:2], off offset:512
	global_load_b32 v20, v[1:2], off offset:1024
	;; [unrolled: 1-line block ×7, first 2 shown]
	global_load_b32 v3, v[3:4], off
	global_load_b32 v4, v[5:6], off
	global_load_b32 v5, v[1:2], off offset:4608
	global_load_b32 v6, v[1:2], off offset:5120
	;; [unrolled: 1-line block ×10, first 2 shown]
	v_add_nc_u32_e32 v2, 0, v7
	v_add_nc_u32_e32 v7, 0, v8
	;; [unrolled: 1-line block ×3, first 2 shown]
	s_wait_loadcnt 0x12
	ds_store_2addr_stride64_b32 v2, v18, v19 offset1:2
	s_wait_loadcnt 0x10
	ds_store_2addr_stride64_b32 v2, v20, v21 offset0:4 offset1:6
	s_wait_loadcnt 0xe
	ds_store_2addr_stride64_b32 v2, v22, v23 offset0:8 offset1:10
	s_wait_loadcnt 0xc
	ds_store_2addr_stride64_b32 v2, v24, v25 offset0:12 offset1:16
	s_wait_loadcnt 0x8
	ds_store_2addr_stride64_b32 v2, v5, v6 offset0:18 offset1:20
	s_wait_loadcnt 0x6
	ds_store_2addr_stride64_b32 v2, v26, v27 offset0:22 offset1:24
	s_wait_loadcnt 0x4
	ds_store_2addr_stride64_b32 v2, v28, v29 offset0:26 offset1:28
	ds_store_b32 v7, v3
	ds_store_b32 v8, v4
	s_wait_loadcnt 0x2
	ds_store_2addr_stride64_b32 v2, v30, v31 offset0:32 offset1:34
	s_wait_loadcnt 0x0
	ds_store_2addr_stride64_b32 v2, v32, v1 offset0:36 offset1:38
.LBB0_13:
	s_or_b32 exec_lo, exec_lo, s1
	v_lshlrev_b32_e32 v12, 2, v0
	s_load_b64 s[2:3], s[2:3], 0x0
	global_wb scope:SCOPE_SE
	s_wait_dscnt 0x0
	s_wait_kmcnt 0x0
	s_barrier_signal -1
	s_barrier_wait -1
	v_add_nc_u32_e32 v20, 0, v12
	global_inv scope:SCOPE_SE
	v_lshl_add_u32 v24, v11, 4, 0
	v_lshl_add_u32 v23, v17, 4, 0
	;; [unrolled: 1-line block ×3, first 2 shown]
	ds_load_2addr_stride64_b32 v[1:2], v20 offset0:8 offset1:10
	ds_load_2addr_stride64_b32 v[3:4], v20 offset0:16 offset1:18
	;; [unrolled: 1-line block ×8, first 2 shown]
	ds_load_2addr_stride64_b32 v[31:32], v20 offset1:2
	ds_load_2addr_stride64_b32 v[33:34], v20 offset0:20 offset1:22
	v_mad_u32_u24 v35, v0, 12, v20
	global_wb scope:SCOPE_SE
	s_wait_dscnt 0x0
	s_barrier_signal -1
	s_barrier_wait -1
	global_inv scope:SCOPE_SE
	v_lshl_add_u32 v21, v15, 4, 0
	s_mov_b32 s1, exec_lo
	v_pk_add_f16 v5, v1, v5 neg_lo:[0,1] neg_hi:[0,1]
	v_pk_add_f16 v7, v3, v7 neg_lo:[0,1] neg_hi:[0,1]
	v_pk_add_f16 v6, v2, v6 neg_lo:[0,1] neg_hi:[0,1]
	v_pk_add_f16 v26, v19, v26 neg_lo:[0,1] neg_hi:[0,1]
	v_pk_add_f16 v25, v18, v25 neg_lo:[0,1] neg_hi:[0,1]
	v_pk_add_f16 v8, v4, v8 neg_lo:[0,1] neg_hi:[0,1]
	v_pk_add_f16 v34, v32, v34 neg_lo:[0,1] neg_hi:[0,1]
	v_pk_add_f16 v33, v31, v33 neg_lo:[0,1] neg_hi:[0,1]
	v_alignbit_b32 v41, s0, v26, 16
	v_pk_add_f16 v30, v28, v30 neg_lo:[0,1] neg_hi:[0,1]
	v_alignbit_b32 v38, s0, v5, 16
	v_pk_fma_f16 v3, v3, 2.0, v7 op_sel_hi:[1,0,1] neg_lo:[0,0,1] neg_hi:[0,0,1]
	v_alignbit_b32 v39, s0, v7, 16
	v_lshrrev_b32_e32 v40, 16, v26
	v_pk_add_f16 v7, v41, v7 neg_lo:[0,1] neg_hi:[0,1]
	v_pk_add_f16 v29, v27, v29 neg_lo:[0,1] neg_hi:[0,1]
	v_alignbit_b32 v41, s0, v25, 16
	v_alignbit_b32 v43, s0, v34, 16
	;; [unrolled: 1-line block ×4, first 2 shown]
	v_pk_fma_f16 v4, v4, 2.0, v8 op_sel_hi:[1,0,1] neg_lo:[0,0,1] neg_hi:[0,0,1]
	v_alignbit_b32 v36, s0, v8, 16
	v_pk_add_f16 v8, v38, v8 neg_lo:[0,1] neg_hi:[0,1]
	v_pk_add_f16 v38, v26, v39
	v_pk_fma_f16 v28, v28, 2.0, v30 op_sel_hi:[1,0,1] neg_lo:[0,0,1] neg_hi:[0,0,1]
	v_fma_f16 v39, v40, 2.0, -v7
	v_alignbit_b32 v40, s0, v30, 16
	v_pk_add_f16 v30, v41, v30 neg_lo:[0,1] neg_hi:[0,1]
	v_alignbit_b32 v41, s0, v29, 16
	v_pk_fma_f16 v27, v27, 2.0, v29 op_sel_hi:[1,0,1] neg_lo:[0,0,1] neg_hi:[0,0,1]
	v_pk_fma_f16 v31, v31, 2.0, v33 op_sel_hi:[1,0,1] neg_lo:[0,0,1] neg_hi:[0,0,1]
	;; [unrolled: 1-line block ×3, first 2 shown]
	v_pk_add_f16 v29, v43, v29 neg_lo:[0,1] neg_hi:[0,1]
	v_pk_add_f16 v43, v33, v44
	v_lshrrev_b32_e32 v44, 16, v33
	v_pk_add_f16 v6, v46, v6 neg_lo:[0,1] neg_hi:[0,1]
	v_pk_fma_f16 v32, v32, 2.0, v34 op_sel_hi:[1,0,1] neg_lo:[0,0,1] neg_hi:[0,0,1]
	v_pk_add_f16 v41, v34, v41
	v_lshrrev_b32_e32 v45, 16, v34
	v_pk_fma_f16 v18, v18, 2.0, v25 op_sel_hi:[1,0,1] neg_lo:[0,0,1] neg_hi:[0,0,1]
	v_pk_add_f16 v40, v25, v40
	v_lshrrev_b32_e32 v42, 16, v25
	v_pk_add_f16 v2, v31, v2 neg_lo:[0,1] neg_hi:[0,1]
	v_fma_f16 v33, v33, 2.0, -v43
	v_fma_f16 v44, v44, 2.0, -v6
	v_pk_add_f16 v27, v32, v27 neg_lo:[0,1] neg_hi:[0,1]
	v_fma_f16 v34, v34, 2.0, -v41
	v_fma_f16 v45, v45, 2.0, -v29
	;; [unrolled: 3-line block ×3, first 2 shown]
	v_pk_fma_f16 v19, v19, 2.0, v26 op_sel_hi:[1,0,1] neg_lo:[0,0,1] neg_hi:[0,0,1]
	v_pk_fma_f16 v31, v31, 2.0, v2 op_sel_hi:[1,0,1] neg_lo:[0,0,1] neg_hi:[0,0,1]
	v_pack_b32_f16 v33, v33, v44
	v_pack_b32_f16 v6, v43, v6
	v_pk_fma_f16 v1, v1, 2.0, v5 op_sel_hi:[1,0,1] neg_lo:[0,0,1] neg_hi:[0,0,1]
	v_lshrrev_b32_e32 v37, 16, v5
	v_pk_add_f16 v36, v5, v36
	v_pk_fma_f16 v32, v32, 2.0, v27 op_sel_hi:[1,0,1] neg_lo:[0,0,1] neg_hi:[0,0,1]
	v_pack_b32_f16 v34, v34, v45
	v_pack_b32_f16 v29, v41, v29
	v_pk_fma_f16 v18, v18, 2.0, v28 op_sel_hi:[1,0,1] neg_lo:[0,0,1] neg_hi:[0,0,1]
	v_pack_b32_f16 v25, v25, v42
	v_pk_add_f16 v3, v19, v3 neg_lo:[0,1] neg_hi:[0,1]
	v_fma_f16 v26, v26, 2.0, -v38
	v_pack_b32_f16 v30, v40, v30
	ds_store_2addr_b32 v35, v31, v33 offset1:1
	ds_store_2addr_b32 v35, v2, v6 offset0:2 offset1:3
	ds_store_2addr_b32 v24, v32, v34 offset1:1
	ds_store_2addr_b32 v24, v27, v29 offset0:2 offset1:3
	;; [unrolled: 2-line block ×3, first 2 shown]
	v_and_b32_e32 v18, 3, v0
	v_pk_add_f16 v4, v1, v4 neg_lo:[0,1] neg_hi:[0,1]
	v_fma_f16 v5, v5, 2.0, -v36
	v_fma_f16 v37, v37, 2.0, -v8
	v_pk_fma_f16 v19, v19, 2.0, v3 op_sel_hi:[1,0,1] neg_lo:[0,0,1] neg_hi:[0,0,1]
	v_pack_b32_f16 v2, v26, v39
	v_pack_b32_f16 v6, v38, v7
	v_pack_b32_f16 v7, v36, v8
	v_mul_u32_u24_e32 v8, 3, v18
	v_pk_fma_f16 v1, v1, 2.0, v4 op_sel_hi:[1,0,1] neg_lo:[0,0,1] neg_hi:[0,0,1]
	v_pack_b32_f16 v5, v5, v37
	ds_store_2addr_b32 v22, v19, v2 offset1:1
	ds_store_2addr_b32 v22, v3, v6 offset0:2 offset1:3
	ds_store_2addr_b32 v21, v1, v5 offset1:1
	ds_store_2addr_b32 v21, v4, v7 offset0:2 offset1:3
	v_lshlrev_b32_e32 v1, 2, v8
	global_wb scope:SCOPE_SE
	s_wait_dscnt 0x0
	s_barrier_signal -1
	s_barrier_wait -1
	global_inv scope:SCOPE_SE
	global_load_b96 v[6:8], v1, s[8:9]
	v_lshlrev_b32_e32 v1, 2, v11
	v_lshlrev_b32_e32 v2, 2, v17
	;; [unrolled: 1-line block ×4, first 2 shown]
	v_and_b32_e32 v5, 15, v0
	v_and_or_b32 v19, 0x1f0, v12, v18
	v_and_or_b32 v29, 0x3f0, v1, v18
	;; [unrolled: 1-line block ×5, first 2 shown]
	v_mul_u32_u24_e32 v39, 3, v5
	v_mad_i32_i24 v26, v16, -12, v22
	v_lshl_add_u32 v43, v19, 2, 0
	v_lshl_add_u32 v44, v29, 2, 0
	;; [unrolled: 1-line block ×3, first 2 shown]
	ds_load_2addr_stride64_b32 v[18:19], v20 offset0:20 offset1:22
	ds_load_2addr_stride64_b32 v[29:30], v20 offset0:32 offset1:34
	;; [unrolled: 1-line block ×4, first 2 shown]
	v_mad_i32_i24 v25, v15, -12, v21
	v_mad_i32_i24 v27, v17, -12, v23
	;; [unrolled: 1-line block ×3, first 2 shown]
	v_lshl_add_u32 v46, v35, 2, 0
	ds_load_2addr_stride64_b32 v[35:36], v20 offset0:16 offset1:18
	v_lshl_add_u32 v47, v37, 2, 0
	ds_load_2addr_stride64_b32 v[37:38], v20 offset0:36 offset1:38
	v_lshlrev_b32_e32 v48, 2, v39
	ds_load_2addr_stride64_b32 v[39:40], v20 offset0:28 offset1:30
	ds_load_2addr_stride64_b32 v[41:42], v20 offset1:10
	ds_load_b32 v49, v26
	ds_load_b32 v50, v25
	;; [unrolled: 1-line block ×4, first 2 shown]
	ds_load_u16 v53, v20 offset:3074
	global_wb scope:SCOPE_SE
	s_wait_loadcnt_dscnt 0x0
	s_barrier_signal -1
	s_barrier_wait -1
	global_inv scope:SCOPE_SE
	v_and_or_b32 v1, 0x3c0, v1, v5
	v_lshrrev_b32_e32 v66, 16, v18
	v_lshrrev_b32_e32 v55, 16, v29
	;; [unrolled: 1-line block ×22, first 2 shown]
	s_delay_alu instid0(VALU_DEP_3) | instskip(SKIP_1) | instid1(VALU_DEP_3)
	v_mul_f16_e32 v76, v71, v66
	v_mul_f16_e32 v77, v71, v18
	;; [unrolled: 1-line block ×30, first 2 shown]
	v_fmac_f16_e32 v76, v7, v18
	v_fmac_f16_e32 v82, v29, v8
	;; [unrolled: 1-line block ×3, first 2 shown]
	v_fma_f16 v18, v7, v66, -v77
	v_fma_f16 v29, v6, v65, -v92
	;; [unrolled: 1-line block ×3, first 2 shown]
	v_fmac_f16_e32 v94, v6, v42
	v_fmac_f16_e32 v95, v8, v40
	;; [unrolled: 1-line block ×5, first 2 shown]
	v_fma_f16 v19, v53, v6, -v79
	v_fma_f16 v31, v54, v7, -v81
	;; [unrolled: 1-line block ×3, first 2 shown]
	v_fmac_f16_e32 v87, v33, v7
	v_fmac_f16_e32 v88, v34, v7
	v_fma_f16 v33, v56, v6, -v85
	v_fma_f16 v34, v57, v7, -v90
	;; [unrolled: 1-line block ×5, first 2 shown]
	v_fmac_f16_e32 v96, v35, v6
	v_fmac_f16_e32 v98, v37, v8
	v_fma_f16 v35, v61, v8, -v99
	v_fmac_f16_e32 v100, v36, v6
	v_fma_f16 v6, v62, v6, -v73
	;; [unrolled: 2-line block ×4, first 2 shown]
	v_sub_f16_e32 v36, v41, v76
	v_sub_f16_e32 v18, v68, v18
	;; [unrolled: 1-line block ×20, first 2 shown]
	v_fma_f16 v41, v41, 2.0, -v36
	v_fma_f16 v60, v68, 2.0, -v18
	;; [unrolled: 1-line block ×12, first 2 shown]
	v_add_f16_e32 v30, v36, v30
	v_sub_f16_e32 v37, v18, v37
	v_add_f16_e32 v32, v38, v32
	v_sub_f16_e32 v39, v31, v39
	v_fma_f16 v49, v49, 2.0, -v56
	v_fma_f16 v66, v72, 2.0, -v55
	;; [unrolled: 1-line block ×8, first 2 shown]
	v_sub_f16_e32 v61, v41, v61
	v_sub_f16_e32 v29, v60, v29
	v_add_f16_e32 v53, v40, v53
	v_sub_f16_e32 v42, v34, v42
	v_sub_f16_e32 v63, v52, v63
	;; [unrolled: 1-line block ×5, first 2 shown]
	v_add_f16_e32 v8, v58, v8
	v_sub_f16_e32 v59, v7, v59
	v_add_f16_e32 v35, v56, v35
	v_sub_f16_e32 v57, v55, v57
	v_fma_f16 v36, v36, 2.0, -v30
	v_fma_f16 v18, v18, 2.0, -v37
	;; [unrolled: 1-line block ×4, first 2 shown]
	v_sub_f16_e32 v67, v49, v67
	v_sub_f16_e32 v54, v66, v54
	;; [unrolled: 1-line block ×4, first 2 shown]
	v_pack_b32_f16 v32, v32, v39
	v_fma_f16 v39, v41, 2.0, -v61
	v_fma_f16 v41, v60, 2.0, -v29
	;; [unrolled: 1-line block ×3, first 2 shown]
	v_pack_b32_f16 v30, v30, v37
	v_pack_b32_f16 v37, v53, v42
	v_fma_f16 v42, v52, 2.0, -v63
	v_fma_f16 v52, v62, 2.0, -v19
	v_pack_b32_f16 v29, v61, v29
	v_fma_f16 v40, v40, 2.0, -v53
	v_fma_f16 v51, v51, 2.0, -v65
	;; [unrolled: 1-line block ×7, first 2 shown]
	v_pack_b32_f16 v35, v35, v57
	v_pack_b32_f16 v8, v8, v59
	v_fma_f16 v49, v49, 2.0, -v67
	v_fma_f16 v57, v66, 2.0, -v54
	;; [unrolled: 1-line block ×4, first 2 shown]
	v_pack_b32_f16 v18, v36, v18
	v_pack_b32_f16 v39, v39, v41
	;; [unrolled: 1-line block ×3, first 2 shown]
	ds_store_2addr_b32 v43, v29, v30 offset0:8 offset1:12
	v_pack_b32_f16 v29, v42, v52
	v_pack_b32_f16 v19, v63, v19
	;; [unrolled: 1-line block ×11, first 2 shown]
	ds_store_2addr_b32 v43, v39, v18 offset1:4
	ds_store_2addr_b32 v44, v29, v31 offset1:4
	ds_store_2addr_b32 v44, v19, v32 offset0:8 offset1:12
	ds_store_2addr_b32 v45, v30, v34 offset1:4
	ds_store_2addr_b32 v45, v33, v37 offset0:8 offset1:12
	;; [unrolled: 2-line block ×4, first 2 shown]
	global_wb scope:SCOPE_SE
	s_wait_dscnt 0x0
	s_barrier_signal -1
	s_barrier_wait -1
	global_inv scope:SCOPE_SE
	global_load_b96 v[6:8], v48, s[8:9] offset:48
	v_and_b32_e32 v29, 63, v0
	v_and_or_b32 v18, 0x1c0, v12, v5
	v_and_or_b32 v30, 0x5c0, v2, v5
	;; [unrolled: 1-line block ×4, first 2 shown]
	v_mul_u32_u24_e32 v36, 9, v29
	v_lshl_add_u32 v40, v18, 2, 0
	v_lshl_add_u32 v41, v1, 2, 0
	ds_load_2addr_stride64_b32 v[1:2], v20 offset0:32 offset1:34
	ds_load_2addr_stride64_b32 v[3:4], v20 offset0:12 offset1:14
	ds_load_2addr_stride64_b32 v[18:19], v20 offset0:24 offset1:26
	ds_load_2addr_stride64_b32 v[34:35], v20 offset0:28 offset1:30
	v_lshl_add_u32 v42, v30, 2, 0
	ds_load_2addr_stride64_b32 v[30:31], v20 offset0:16 offset1:18
	v_lshl_add_u32 v43, v32, 2, 0
	ds_load_2addr_stride64_b32 v[32:33], v20 offset0:36 offset1:38
	v_lshlrev_b32_e32 v44, 2, v36
	ds_load_2addr_stride64_b32 v[36:37], v20 offset1:10
	ds_load_2addr_stride64_b32 v[38:39], v20 offset0:20 offset1:22
	ds_load_b32 v45, v28
	ds_load_b32 v46, v27
	;; [unrolled: 1-line block ×4, first 2 shown]
	global_wb scope:SCOPE_SE
	s_wait_loadcnt_dscnt 0x0
	s_barrier_signal -1
	s_barrier_wait -1
	global_inv scope:SCOPE_SE
	v_lshl_add_u32 v5, v5, 2, 0
	v_lshrrev_b32_e32 v49, 16, v1
	v_lshrrev_b32_e32 v52, 16, v2
	;; [unrolled: 1-line block ×23, first 2 shown]
	s_delay_alu instid0(VALU_DEP_3) | instskip(SKIP_1) | instid1(VALU_DEP_4)
	v_mul_f16_e32 v72, v67, v59
	v_mul_f16_e32 v73, v67, v37
	v_mul_f16_e32 v74, v69, v60
	v_mul_f16_e32 v75, v69, v38
	v_mul_f16_e32 v76, v71, v61
	v_mul_f16_e32 v77, v71, v35
	v_mul_f16_e32 v78, v67, v62
	v_mul_f16_e32 v82, v49, v71
	v_mul_f16_e32 v85, v52, v71
	v_mul_f16_e32 v79, v67, v3
	v_mul_f16_e32 v80, v69, v63
	v_mul_f16_e32 v81, v69, v39
	v_mul_f16_e32 v83, v50, v67
	v_mul_f16_e32 v84, v1, v71
	v_mul_f16_e32 v86, v4, v67
	v_mul_f16_e32 v87, v51, v69
	v_mul_f16_e32 v88, v2, v71
	v_mul_f16_e32 v89, v18, v69
	v_mul_f16_e32 v90, v53, v67
	v_mul_f16_e32 v91, v30, v67
	v_mul_f16_e32 v92, v54, v69
	v_mul_f16_e32 v93, v19, v69
	v_mul_f16_e32 v94, v55, v71
	v_mul_f16_e32 v95, v32, v71
	v_mul_f16_e32 v96, v56, v67
	v_mul_f16_e32 v67, v31, v67
	v_mul_f16_e32 v97, v57, v69
	v_mul_f16_e32 v69, v34, v69
	v_mul_f16_e32 v98, v58, v71
	v_mul_f16_e32 v71, v33, v71
	v_fmac_f16_e32 v74, v7, v38
	v_fmac_f16_e32 v78, v6, v3
	;; [unrolled: 1-line block ×4, first 2 shown]
	v_fma_f16 v1, v6, v59, -v73
	v_fma_f16 v2, v7, v60, -v75
	;; [unrolled: 1-line block ×3, first 2 shown]
	v_fmac_f16_e32 v72, v6, v37
	v_fmac_f16_e32 v76, v8, v35
	;; [unrolled: 1-line block ×4, first 2 shown]
	v_fma_f16 v4, v6, v62, -v79
	v_fma_f16 v38, v7, v63, -v81
	;; [unrolled: 1-line block ×6, first 2 shown]
	v_fmac_f16_e32 v87, v18, v7
	v_fmac_f16_e32 v90, v30, v6
	v_fma_f16 v18, v53, v6, -v91
	v_fmac_f16_e32 v92, v19, v7
	v_fma_f16 v19, v54, v7, -v93
	;; [unrolled: 2-line block ×6, first 2 shown]
	v_sub_f16_e32 v31, v36, v74
	v_sub_f16_e32 v2, v64, v2
	;; [unrolled: 1-line block ×20, first 2 shown]
	v_fma_f16 v36, v36, 2.0, -v31
	v_fma_f16 v56, v64, 2.0, -v2
	;; [unrolled: 1-line block ×12, first 2 shown]
	v_add_f16_e32 v3, v31, v3
	v_sub_f16_e32 v32, v2, v32
	v_add_f16_e32 v37, v33, v37
	v_sub_f16_e32 v35, v34, v35
	v_fma_f16 v47, v47, 2.0, -v52
	v_fma_f16 v62, v68, 2.0, -v19
	;; [unrolled: 1-line block ×8, first 2 shown]
	v_sub_f16_e32 v57, v36, v57
	v_sub_f16_e32 v1, v56, v1
	v_add_f16_e32 v51, v38, v51
	v_sub_f16_e32 v50, v39, v50
	v_sub_f16_e32 v59, v45, v59
	;; [unrolled: 1-line block ×5, first 2 shown]
	v_add_f16_e32 v8, v54, v8
	v_sub_f16_e32 v55, v7, v55
	v_add_f16_e32 v30, v52, v30
	v_sub_f16_e32 v53, v19, v53
	v_fma_f16 v31, v31, 2.0, -v3
	v_fma_f16 v2, v2, 2.0, -v32
	;; [unrolled: 1-line block ×3, first 2 shown]
	v_sub_f16_e32 v63, v47, v63
	v_sub_f16_e32 v18, v62, v18
	;; [unrolled: 1-line block ×4, first 2 shown]
	v_pack_b32_f16 v3, v3, v32
	v_pack_b32_f16 v32, v37, v35
	v_fma_f16 v36, v36, 2.0, -v57
	v_fma_f16 v37, v56, 2.0, -v1
	;; [unrolled: 1-line block ×4, first 2 shown]
	v_pack_b32_f16 v35, v51, v50
	v_fma_f16 v45, v45, 2.0, -v59
	v_fma_f16 v50, v58, 2.0, -v4
	v_pack_b32_f16 v1, v57, v1
	v_fma_f16 v38, v38, 2.0, -v51
	v_fma_f16 v46, v46, 2.0, -v61
	;; [unrolled: 1-line block ×7, first 2 shown]
	v_pack_b32_f16 v30, v30, v53
	v_pack_b32_f16 v8, v8, v55
	v_fma_f16 v47, v47, 2.0, -v63
	v_fma_f16 v53, v62, 2.0, -v18
	;; [unrolled: 1-line block ×4, first 2 shown]
	v_pack_b32_f16 v2, v31, v2
	v_pack_b32_f16 v36, v36, v37
	;; [unrolled: 1-line block ×3, first 2 shown]
	ds_store_2addr_b32 v40, v1, v3 offset0:32 offset1:48
	v_pack_b32_f16 v1, v45, v50
	v_pack_b32_f16 v4, v59, v4
	;; [unrolled: 1-line block ×11, first 2 shown]
	ds_store_2addr_b32 v40, v36, v2 offset1:16
	ds_store_2addr_b32 v41, v1, v31 offset1:16
	ds_store_2addr_b32 v41, v4, v32 offset0:32 offset1:48
	ds_store_2addr_b32 v42, v3, v33 offset1:16
	ds_store_2addr_b32 v42, v34, v35 offset0:32 offset1:48
	;; [unrolled: 2-line block ×4, first 2 shown]
	v_mov_b32_e32 v19, 0
	global_wb scope:SCOPE_SE
	s_wait_dscnt 0x0
	s_barrier_signal -1
	s_barrier_wait -1
	global_inv scope:SCOPE_SE
	s_clause 0x2
	global_load_b128 v[1:4], v44, s[8:9] offset:240
	global_load_b128 v[5:8], v44, s[8:9] offset:256
	global_load_b32 v30, v44, s[8:9] offset:272
	v_lshrrev_b32_e32 v31, 6, v0
	v_mul_i32_i24_e32 v18, 3, v11
	v_lshrrev_b32_e32 v34, 6, v11
	v_mul_u32_u24_e32 v35, 3, v0
	ds_load_2addr_stride64_b32 v[38:39], v20 offset1:6
	ds_load_2addr_stride64_b32 v[40:41], v20 offset0:18 offset1:20
	ds_load_2addr_stride64_b32 v[42:43], v20 offset0:22 offset1:24
	;; [unrolled: 1-line block ×7, first 2 shown]
	v_mul_u32_u24_e32 v36, 0x280, v31
	v_lshlrev_b64_e32 v[32:33], 2, v[18:19]
	v_mul_i32_i24_e32 v18, 3, v17
	v_mul_lo_u32 v37, 0x280, v34
	v_lshlrev_b32_e32 v31, 2, v35
	v_or_b32_e32 v36, v36, v29
	s_delay_alu instid0(VALU_DEP_4) | instskip(SKIP_4) | instid1(VALU_DEP_4)
	v_lshlrev_b64_e32 v[34:35], 2, v[18:19]
	v_mul_i32_i24_e32 v18, 3, v16
	v_add_co_u32 v32, s0, s8, v32
	v_or_b32_e32 v29, v37, v29
	v_lshl_add_u32 v56, v36, 2, 0
	v_lshlrev_b64_e32 v[36:37], 2, v[18:19]
	v_mul_i32_i24_e32 v18, 3, v15
	s_wait_dscnt 0x6
	v_lshrrev_b32_e32 v61, 16, v41
	s_wait_dscnt 0x5
	v_lshrrev_b32_e32 v62, 16, v43
	;; [unrolled: 2-line block ×4, first 2 shown]
	v_lshlrev_b64_e32 v[54:55], 2, v[18:19]
	ds_load_b32 v18, v20 offset:9728
	ds_load_b32 v57, v25
	ds_load_b32 v58, v27
	;; [unrolled: 1-line block ×3, first 2 shown]
	s_wait_dscnt 0x4
	v_lshrrev_b32_e32 v68, 16, v52
	v_lshrrev_b32_e32 v78, 16, v53
	;; [unrolled: 1-line block ×12, first 2 shown]
	s_wait_alu 0xf1ff
	v_add_co_ci_u32_e64 v33, s0, s9, v33, s0
	v_add_co_u32 v34, s0, s8, v34
	s_wait_dscnt 0x3
	v_lshrrev_b32_e32 v74, 16, v18
	s_wait_dscnt 0x2
	v_lshrrev_b32_e32 v76, 16, v57
	;; [unrolled: 2-line block ×4, first 2 shown]
	s_wait_alu 0xf1ff
	v_add_co_ci_u32_e64 v35, s0, s9, v35, s0
	v_lshl_add_u32 v29, v29, 2, 0
	global_wb scope:SCOPE_SE
	s_wait_loadcnt 0x0
	s_barrier_signal -1
	s_barrier_wait -1
	global_inv scope:SCOPE_SE
	v_lshrrev_b32_e32 v82, 16, v3
	v_lshrrev_b32_e32 v81, 16, v4
	;; [unrolled: 1-line block ×9, first 2 shown]
	v_mul_f16_e32 v91, v68, v82
	v_mul_f16_e32 v90, v81, v78
	;; [unrolled: 1-line block ×27, first 2 shown]
	v_fmac_f16_e32 v91, v52, v3
	v_mul_f16_e32 v52, v73, v87
	v_mul_f16_e32 v85, v44, v85
	v_fmac_f16_e32 v90, v4, v53
	v_mul_f16_e32 v53, v48, v87
	v_mul_f16_e32 v111, v70, v84
	;; [unrolled: 1-line block ×7, first 2 shown]
	v_fmac_f16_e32 v92, v3, v51
	v_fmac_f16_e32 v94, v50, v2
	v_fmac_f16_e32 v89, v1, v58
	v_fma_f16 v50, v1, v75, -v96
	v_fmac_f16_e32 v98, v2, v57
	v_fma_f16 v51, v2, v76, -v83
	v_fma_f16 v57, v3, v77, -v82
	;; [unrolled: 1-line block ×6, first 2 shown]
	v_fmac_f16_e32 v101, v40, v4
	v_fmac_f16_e32 v80, v39, v1
	;; [unrolled: 1-line block ×3, first 2 shown]
	v_fma_f16 v1, v61, v5, -v102
	v_fma_f16 v4, v62, v6, -v104
	;; [unrolled: 1-line block ×5, first 2 shown]
	v_fmac_f16_e32 v103, v43, v6
	v_fmac_f16_e32 v105, v45, v7
	v_fmac_f16_e32 v107, v47, v8
	v_fmac_f16_e32 v110, v49, v30
	v_fmac_f16_e32 v112, v44, v6
	v_fmac_f16_e32 v52, v48, v8
	v_fma_f16 v6, v71, v6, -v85
	v_fma_f16 v8, v73, v8, -v53
	;; [unrolled: 1-line block ×3, first 2 shown]
	v_fmac_f16_e32 v111, v42, v5
	v_fma_f16 v5, v70, v5, -v84
	v_fmac_f16_e32 v113, v46, v7
	v_fma_f16 v7, v72, v7, -v86
	;; [unrolled: 2-line block ×3, first 2 shown]
	v_sub_f16_e32 v46, v90, v98
	v_sub_f16_e32 v47, v103, v107
	;; [unrolled: 1-line block ×6, first 2 shown]
	v_add_f16_e32 v68, v100, v105
	v_sub_f16_e32 v69, v92, v100
	v_sub_f16_e32 v70, v110, v105
	v_add_f16_e32 v71, v92, v110
	v_sub_f16_e32 v72, v100, v92
	v_sub_f16_e32 v73, v105, v110
	;; [unrolled: 3-line block ×4, first 2 shown]
	v_sub_f16_e32 v83, v94, v101
	v_sub_f16_e32 v84, v52, v112
	v_add_f16_e32 v85, v101, v112
	v_add_f16_e32 v86, v94, v52
	;; [unrolled: 1-line block ×8, first 2 shown]
	v_sub_f16_e32 v43, v98, v90
	v_sub_f16_e32 v44, v107, v103
	v_add_f16_e32 v48, v60, v51
	v_add_f16_e32 v65, v89, v92
	;; [unrolled: 1-line block ×4, first 2 shown]
	v_sub_f16_e32 v96, v2, v67
	v_sub_f16_e32 v97, v8, v6
	v_add_f16_e32 v104, v79, v2
	v_add_f16_e32 v46, v46, v47
	;; [unrolled: 1-line block ×6, first 2 shown]
	v_sub_f16_e32 v64, v111, v91
	v_add_f16_e32 v69, v69, v70
	v_sub_f16_e32 v70, v113, v87
	v_fma_f16 v68, -0.5, v68, v89
	v_fmac_f16_e32 v89, -0.5, v71
	v_sub_f16_e32 v71, v3, v5
	v_add_f16_e32 v72, v72, v73
	v_sub_f16_e32 v73, v18, v7
	v_add_f16_e32 v76, v76, v77
	v_add_f16_e32 v77, v5, v7
	v_fma_f16 v75, -0.5, v75, v50
	v_fmac_f16_e32 v50, -0.5, v78
	v_add_f16_e32 v78, v3, v18
	v_add_f16_e32 v81, v81, v82
	;; [unrolled: 1-line block ×4, first 2 shown]
	v_sub_f16_e32 v84, v5, v3
	v_fma_f16 v85, -0.5, v85, v59
	v_fmac_f16_e32 v59, -0.5, v86
	v_sub_f16_e32 v86, v7, v18
	v_sub_f16_e32 v92, v92, v110
	;; [unrolled: 1-line block ×4, first 2 shown]
	v_fma_f16 v49, -0.5, v49, v60
	v_fmac_f16_e32 v60, -0.5, v62
	v_add_f16_e32 v62, v80, v91
	v_fma_f16 v99, -0.5, v99, v79
	v_fmac_f16_e32 v79, -0.5, v102
	v_sub_f16_e32 v102, v100, v105
	v_add_f16_e32 v45, v98, v107
	v_sub_f16_e32 v93, v101, v94
	v_sub_f16_e32 v95, v112, v52
	v_add_f16_e32 v43, v43, v44
	v_sub_f16_e32 v44, v91, v111
	v_fma_f16 v42, -0.5, v42, v38
	v_add_f16_e32 v96, v96, v97
	v_sub_f16_e32 v97, v58, v4
	v_fma_f16 v47, -0.5, v47, v80
	v_fmac_f16_e32 v80, -0.5, v61
	v_sub_f16_e32 v61, v67, v6
	v_add_f16_e32 v64, v64, v70
	v_sub_f16_e32 v70, v111, v113
	v_add_f16_e32 v71, v71, v73
	v_sub_f16_e32 v73, v5, v7
	v_sub_f16_e32 v51, v51, v40
	;; [unrolled: 1-line block ×4, first 2 shown]
	v_fma_f16 v77, -0.5, v77, v66
	v_fmac_f16_e32 v66, -0.5, v78
	v_add_f16_e32 v78, v84, v86
	v_add_f16_e32 v30, v30, v90
	;; [unrolled: 1-line block ×6, first 2 shown]
	v_fmamk_f16 v84, v92, 0x3b9c, v75
	v_add_f16_e32 v106, v106, v108
	v_sub_f16_e32 v108, v1, v39
	v_sub_f16_e32 v3, v3, v18
	v_add_f16_e32 v1, v74, v1
	v_add_f16_e32 v65, v88, v101
	v_add_f16_e32 v62, v62, v111
	v_fmamk_f16 v86, v102, 0xbb9c, v50
	v_fmac_f16_e32 v50, 0x3b9c, v102
	v_fmac_f16_e32 v38, -0.5, v45
	v_fmac_f16_e32 v75, 0xbb9c, v92
	v_sub_f16_e32 v45, v87, v113
	v_add_f16_e32 v93, v93, v95
	v_sub_f16_e32 v95, v90, v103
	v_sub_f16_e32 v98, v98, v107
	v_sub_f16_e32 v2, v2, v8
	v_add_f16_e32 v30, v30, v103
	v_add_f16_e32 v4, v48, v4
	;; [unrolled: 1-line block ×5, first 2 shown]
	v_fmamk_f16 v7, v51, 0xbb9c, v42
	v_fmac_f16_e32 v42, 0x3b9c, v51
	v_fmamk_f16 v74, v57, 0xbb9c, v68
	v_fmamk_f16 v90, v61, 0x3b9c, v59
	v_fmac_f16_e32 v59, 0xbb9c, v61
	v_fmamk_f16 v104, v73, 0x3b9c, v80
	v_fmac_f16_e32 v80, 0xbb9c, v73
	;; [unrolled: 2-line block ×4, first 2 shown]
	v_fmac_f16_e32 v84, 0x38b4, v102
	v_sub_f16_e32 v94, v94, v52
	v_add_f16_e32 v1, v1, v39
	v_add_f16_e32 v39, v65, v112
	;; [unrolled: 1-line block ×3, first 2 shown]
	v_fmamk_f16 v82, v108, 0x3b9c, v89
	v_fmac_f16_e32 v89, 0xbb9c, v108
	v_fmamk_f16 v103, v3, 0xbb9c, v47
	v_fmac_f16_e32 v47, 0x3b9c, v3
	v_fmac_f16_e32 v86, 0x38b4, v92
	;; [unrolled: 1-line block ×3, first 2 shown]
	v_fmamk_f16 v62, v97, 0x3b9c, v38
	v_fmac_f16_e32 v38, 0xbb9c, v97
	v_fmac_f16_e32 v68, 0x3b9c, v57
	;; [unrolled: 1-line block ×3, first 2 shown]
	v_add_f16_e32 v44, v44, v45
	v_sub_f16_e32 v45, v101, v112
	v_fmamk_f16 v65, v98, 0x3b9c, v49
	v_fmac_f16_e32 v49, 0xbb9c, v98
	v_fmamk_f16 v88, v2, 0xbb9c, v85
	v_fmac_f16_e32 v85, 0x3b9c, v2
	v_add_f16_e32 v30, v30, v107
	v_fmac_f16_e32 v7, 0xb8b4, v97
	v_fmac_f16_e32 v42, 0x38b4, v97
	v_add_f16_e32 v4, v4, v40
	v_add_f16_e32 v40, v48, v110
	v_fmac_f16_e32 v74, 0xb8b4, v108
	v_fmac_f16_e32 v90, 0xb8b4, v2
	;; [unrolled: 1-line block ×3, first 2 shown]
	v_add_f16_e32 v2, v6, v8
	v_fmac_f16_e32 v104, 0xb8b4, v3
	v_fmac_f16_e32 v80, 0x38b4, v3
	v_add_f16_e32 v3, v5, v18
	v_fmac_f16_e32 v105, 0x38b4, v70
	v_fmac_f16_e32 v77, 0xb8b4, v70
	;; [unrolled: 1-line block ×5, first 2 shown]
	v_fmamk_f16 v67, v95, 0xbb9c, v60
	v_fmac_f16_e32 v60, 0x3b9c, v95
	v_fmamk_f16 v100, v94, 0x3b9c, v99
	v_fmac_f16_e32 v99, 0xbb9c, v94
	v_fmac_f16_e32 v82, 0xb8b4, v57
	;; [unrolled: 1-line block ×3, first 2 shown]
	v_add_f16_e32 v1, v1, v41
	v_add_f16_e32 v39, v39, v52
	;; [unrolled: 1-line block ×3, first 2 shown]
	v_fmac_f16_e32 v103, 0xb8b4, v73
	v_fmac_f16_e32 v47, 0x38b4, v73
	;; [unrolled: 1-line block ×8, first 2 shown]
	v_fmamk_f16 v101, v45, 0xbb9c, v79
	v_fmac_f16_e32 v79, 0x3b9c, v45
	v_fmac_f16_e32 v65, 0x38b4, v95
	;; [unrolled: 1-line block ×6, first 2 shown]
	v_add_f16_e32 v5, v30, v40
	v_sub_f16_e32 v18, v30, v40
	v_fmac_f16_e32 v105, 0x34f2, v71
	v_fmac_f16_e32 v77, 0x34f2, v71
	;; [unrolled: 1-line block ×4, first 2 shown]
	v_add_f16_e32 v30, v2, v3
	v_sub_f16_e32 v2, v2, v3
	v_mul_f16_e32 v3, 0xb8b4, v84
	v_mul_f16_e32 v43, 0x3a79, v84
	v_fmac_f16_e32 v67, 0x38b4, v98
	v_fmac_f16_e32 v60, 0xb8b4, v98
	;; [unrolled: 1-line block ×6, first 2 shown]
	v_add_f16_e32 v8, v4, v1
	v_sub_f16_e32 v1, v4, v1
	v_fmac_f16_e32 v103, 0x34f2, v44
	v_fmac_f16_e32 v47, 0x34f2, v44
	v_add_f16_e32 v4, v39, v6
	v_sub_f16_e32 v6, v39, v6
	v_mul_f16_e32 v39, 0xbb9c, v86
	v_mul_f16_e32 v40, 0xbb9c, v50
	;; [unrolled: 1-line block ×4, first 2 shown]
	v_fmac_f16_e32 v62, 0x34f2, v46
	v_fmac_f16_e32 v38, 0x34f2, v46
	;; [unrolled: 1-line block ×3, first 2 shown]
	v_mul_f16_e32 v41, 0xb8b4, v75
	v_mul_f16_e32 v46, 0xba79, v75
	v_fmac_f16_e32 v88, 0xb8b4, v61
	v_fmac_f16_e32 v85, 0x38b4, v61
	;; [unrolled: 1-line block ×8, first 2 shown]
	v_mul_f16_e32 v48, 0xb8b4, v105
	v_mul_f16_e32 v50, 0xbb9c, v109
	;; [unrolled: 1-line block ×8, first 2 shown]
	v_fmac_f16_e32 v3, 0x3a79, v74
	v_fmac_f16_e32 v43, 0x38b4, v74
	;; [unrolled: 1-line block ×18, first 2 shown]
	v_pack_b32_f16 v2, v6, v2
	v_fmac_f16_e32 v48, 0x3a79, v103
	v_fmac_f16_e32 v50, 0x34f2, v104
	;; [unrolled: 1-line block ×8, first 2 shown]
	v_add_f16_e32 v6, v7, v3
	v_add_f16_e32 v47, v65, v43
	v_pack_b32_f16 v5, v5, v8
	v_pack_b32_f16 v1, v18, v1
	v_add_f16_e32 v8, v62, v39
	v_add_f16_e32 v18, v38, v40
	;; [unrolled: 1-line block ×4, first 2 shown]
	v_pack_b32_f16 v4, v4, v30
	v_add_f16_e32 v30, v42, v41
	v_add_f16_e32 v66, v49, v46
	v_sub_f16_e32 v3, v7, v3
	v_sub_f16_e32 v7, v62, v39
	;; [unrolled: 1-line block ×8, first 2 shown]
	v_add_f16_e32 v44, v88, v48
	v_add_f16_e32 v45, v90, v50
	;; [unrolled: 1-line block ×8, first 2 shown]
	v_sub_f16_e32 v48, v88, v48
	v_sub_f16_e32 v50, v90, v50
	;; [unrolled: 1-line block ×8, first 2 shown]
	v_pack_b32_f16 v6, v6, v47
	v_pack_b32_f16 v8, v8, v63
	;; [unrolled: 1-line block ×16, first 2 shown]
	ds_store_2addr_stride64_b32 v56, v5, v6 offset1:1
	ds_store_2addr_stride64_b32 v56, v8, v18 offset0:2 offset1:3
	ds_store_2addr_stride64_b32 v56, v30, v1 offset0:4 offset1:5
	;; [unrolled: 1-line block ×4, first 2 shown]
	ds_store_2addr_stride64_b32 v29, v4, v40 offset1:1
	ds_store_2addr_stride64_b32 v29, v41, v42 offset0:2 offset1:3
	ds_store_2addr_stride64_b32 v29, v43, v2 offset0:4 offset1:5
	;; [unrolled: 1-line block ×4, first 2 shown]
	v_add_co_u32 v7, s0, s8, v36
	s_wait_alu 0xf1ff
	v_add_co_ci_u32_e64 v8, s0, s9, v37, s0
	global_wb scope:SCOPE_SE
	s_wait_dscnt 0x0
	s_barrier_signal -1
	s_barrier_wait -1
	global_inv scope:SCOPE_SE
	s_clause 0x2
	global_load_b96 v[1:3], v31, s[8:9] offset:2544
	global_load_b96 v[4:6], v[32:33], off offset:2544
	global_load_b96 v[29:31], v[34:35], off offset:2544
	v_add_co_u32 v35, s0, s8, v54
	s_wait_alu 0xf1ff
	v_add_co_ci_u32_e64 v36, s0, s9, v55, s0
	s_clause 0x1
	global_load_b96 v[32:34], v[7:8], off offset:2544
	global_load_b96 v[35:37], v[35:36], off offset:2544
	ds_load_2addr_stride64_b32 v[7:8], v20 offset1:10
	ds_load_b32 v18, v28
	ds_load_2addr_stride64_b32 v[38:39], v20 offset0:20 offset1:22
	ds_load_2addr_stride64_b32 v[40:41], v20 offset0:32 offset1:34
	ds_load_b32 v52, v27
	ds_load_2addr_stride64_b32 v[42:43], v20 offset0:12 offset1:14
	ds_load_2addr_stride64_b32 v[44:45], v20 offset0:24 offset1:26
	;; [unrolled: 3-line block ×3, first 2 shown]
	ds_load_b32 v54, v25
	ds_load_2addr_stride64_b32 v[50:51], v20 offset0:28 offset1:30
	global_wb scope:SCOPE_SE
	s_wait_loadcnt_dscnt 0x0
	s_barrier_signal -1
	s_barrier_wait -1
	global_inv scope:SCOPE_SE
	v_lshrrev_b32_e32 v71, 16, v8
	v_lshrrev_b32_e32 v55, 16, v7
	;; [unrolled: 1-line block ×35, first 2 shown]
	v_mul_f16_e32 v90, v75, v8
	v_mul_f16_e32 v91, v76, v38
	;; [unrolled: 1-line block ×30, first 2 shown]
	v_fma_f16 v71, v1, v71, -v90
	v_fma_f16 v72, v2, v72, -v91
	;; [unrolled: 1-line block ×3, first 2 shown]
	v_fmac_f16_e32 v75, v1, v8
	v_fmac_f16_e32 v76, v2, v38
	;; [unrolled: 1-line block ×4, first 2 shown]
	v_fma_f16 v1, v4, v74, -v94
	v_fma_f16 v2, v57, v5, -v79
	;; [unrolled: 1-line block ×3, first 2 shown]
	v_fmac_f16_e32 v78, v4, v42
	v_fmac_f16_e32 v80, v40, v6
	;; [unrolled: 1-line block ×4, first 2 shown]
	v_fma_f16 v4, v60, v29, -v81
	v_fma_f16 v5, v61, v30, -v82
	;; [unrolled: 1-line block ×3, first 2 shown]
	v_fmac_f16_e32 v98, v44, v30
	v_fmac_f16_e32 v99, v46, v32
	v_fma_f16 v8, v64, v32, -v84
	v_fmac_f16_e32 v100, v45, v33
	v_fma_f16 v29, v65, v33, -v85
	;; [unrolled: 2-line block ×6, first 2 shown]
	v_sub_f16_e32 v34, v7, v76
	v_sub_f16_e32 v35, v55, v72
	;; [unrolled: 1-line block ×20, first 2 shown]
	v_fma_f16 v7, v7, 2.0, -v34
	v_fma_f16 v46, v55, 2.0, -v35
	;; [unrolled: 1-line block ×8, first 2 shown]
	v_add_f16_e32 v37, v34, v37
	v_sub_f16_e32 v36, v35, v36
	v_fma_f16 v51, v52, 2.0, -v40
	v_fma_f16 v52, v59, 2.0, -v5
	;; [unrolled: 1-line block ×12, first 2 shown]
	v_sub_f16_e32 v47, v7, v47
	v_sub_f16_e32 v48, v46, v48
	v_add_f16_e32 v3, v38, v3
	v_sub_f16_e32 v39, v2, v39
	v_sub_f16_e32 v50, v18, v50
	;; [unrolled: 1-line block ×3, first 2 shown]
	v_add_f16_e32 v6, v40, v6
	v_sub_f16_e32 v41, v5, v41
	v_add_f16_e32 v30, v42, v30
	v_sub_f16_e32 v43, v29, v43
	v_fma_f16 v34, v34, 2.0, -v37
	v_fma_f16 v35, v35, 2.0, -v36
	v_sub_f16_e32 v55, v51, v55
	v_sub_f16_e32 v4, v52, v4
	v_add_f16_e32 v33, v44, v33
	v_sub_f16_e32 v45, v32, v45
	v_sub_f16_e32 v57, v53, v57
	;; [unrolled: 1-line block ×5, first 2 shown]
	v_pack_b32_f16 v36, v37, v36
	v_fma_f16 v7, v7, 2.0, -v47
	v_fma_f16 v37, v46, 2.0, -v48
	;; [unrolled: 1-line block ×4, first 2 shown]
	v_pack_b32_f16 v3, v3, v39
	v_fma_f16 v18, v18, 2.0, -v50
	v_fma_f16 v39, v49, 2.0, -v1
	;; [unrolled: 1-line block ×6, first 2 shown]
	v_pack_b32_f16 v6, v6, v41
	v_pack_b32_f16 v30, v30, v43
	v_fma_f16 v41, v51, 2.0, -v55
	v_fma_f16 v43, v52, 2.0, -v4
	v_pack_b32_f16 v34, v34, v35
	v_pack_b32_f16 v35, v47, v48
	v_fma_f16 v44, v44, 2.0, -v33
	v_fma_f16 v32, v32, 2.0, -v45
	v_pack_b32_f16 v33, v33, v45
	v_fma_f16 v45, v53, 2.0, -v57
	v_fma_f16 v46, v56, 2.0, -v8
	;; [unrolled: 1-line block ×4, first 2 shown]
	v_pack_b32_f16 v7, v7, v37
	v_pack_b32_f16 v2, v38, v2
	;; [unrolled: 1-line block ×5, first 2 shown]
	ds_store_2addr_stride64_b32 v20, v35, v36 offset0:20 offset1:30
	v_pack_b32_f16 v35, v41, v43
	v_pack_b32_f16 v4, v55, v4
	v_pack_b32_f16 v29, v42, v29
	v_pack_b32_f16 v8, v57, v8
	v_pack_b32_f16 v32, v44, v32
	v_pack_b32_f16 v31, v59, v31
	v_pack_b32_f16 v36, v45, v46
	v_pack_b32_f16 v37, v49, v51
	ds_store_2addr_stride64_b32 v20, v7, v34 offset1:10
	ds_store_2addr_stride64_b32 v28, v18, v2 offset1:10
	ds_store_2addr_stride64_b32 v28, v1, v3 offset0:20 offset1:30
	ds_store_2addr_stride64_b32 v27, v35, v5 offset1:10
	ds_store_2addr_stride64_b32 v27, v4, v6 offset0:20 offset1:30
	;; [unrolled: 2-line block ×4, first 2 shown]
	global_wb scope:SCOPE_SE
	s_wait_dscnt 0x0
	s_barrier_signal -1
	s_barrier_wait -1
	global_inv scope:SCOPE_SE
	ds_load_b32 v18, v20
	v_sub_nc_u32_e32 v3, 0, v12
                                        ; implicit-def: $vgpr25
                                        ; implicit-def: $vgpr8
                                        ; implicit-def: $vgpr7
                                        ; implicit-def: $vgpr1_vgpr2
	v_cmpx_ne_u32_e32 0, v0
	s_wait_alu 0xfffe
	s_xor_b32 s1, exec_lo, s1
	s_cbranch_execz .LBB0_15
; %bb.14:
	v_mov_b32_e32 v1, v19
	s_delay_alu instid0(VALU_DEP_1) | instskip(NEXT) | instid1(VALU_DEP_1)
	v_lshlrev_b64_e32 v[4:5], 2, v[0:1]
	v_add_co_u32 v4, s0, s8, v4
	s_wait_alu 0xf1ff
	s_delay_alu instid0(VALU_DEP_2)
	v_add_co_ci_u32_e64 v5, s0, s9, v5, s0
	global_load_b32 v2, v[4:5], off offset:10224
	ds_load_b32 v4, v3 offset:10240
	s_wait_dscnt 0x0
	v_pk_add_f16 v5, v18, v4 neg_lo:[0,1] neg_hi:[0,1]
	v_pk_add_f16 v4, v4, v18
                                        ; implicit-def: $vgpr18
	s_delay_alu instid0(VALU_DEP_1) | instskip(SKIP_1) | instid1(VALU_DEP_2)
	v_bfi_b32 v6, 0xffff, v5, v4
	v_bfi_b32 v4, 0xffff, v4, v5
	v_pk_mul_f16 v6, v6, 0.5 op_sel_hi:[1,0]
	s_delay_alu instid0(VALU_DEP_2) | instskip(SKIP_1) | instid1(VALU_DEP_2)
	v_pk_mul_f16 v7, v4, 0.5 op_sel_hi:[1,0]
	s_wait_loadcnt 0x0
	v_pk_mul_f16 v5, v2, v6 op_sel:[1,0]
	v_pk_mul_f16 v2, v2, v6 op_sel_hi:[0,1]
	s_delay_alu instid0(VALU_DEP_3) | instskip(NEXT) | instid1(VALU_DEP_3)
	v_lshrrev_b32_e32 v6, 16, v7
	v_lshrrev_b32_e32 v8, 16, v5
	v_pk_fma_f16 v4, v4, 0.5, v5 op_sel_hi:[1,0,1]
	v_sub_f16_e32 v5, v7, v5
	v_lshrrev_b32_e32 v7, 16, v2
	s_delay_alu instid0(VALU_DEP_4) | instskip(NEXT) | instid1(VALU_DEP_4)
	v_sub_f16_e32 v6, v8, v6
	v_pk_add_f16 v12, v4, v2 op_sel:[0,1] op_sel_hi:[1,0]
	v_pk_add_f16 v4, v4, v2 op_sel:[0,1] op_sel_hi:[1,0] neg_lo:[0,1] neg_hi:[0,1]
	s_delay_alu instid0(VALU_DEP_4) | instskip(NEXT) | instid1(VALU_DEP_4)
	v_sub_f16_e32 v8, v5, v7
	v_sub_f16_e32 v7, v6, v2
	v_mov_b32_e32 v2, v1
	s_delay_alu instid0(VALU_DEP_4)
	v_bfi_b32 v25, 0xffff, v12, v4
	v_mov_b32_e32 v1, v0
.LBB0_15:
	s_wait_alu 0xfffe
	s_or_saveexec_b32 s0, s1
	v_mul_i32_i24_e32 v19, -12, v11
	v_mul_i32_i24_e32 v6, -12, v17
	;; [unrolled: 1-line block ×4, first 2 shown]
	s_wait_alu 0xfffe
	s_xor_b32 exec_lo, exec_lo, s0
	s_cbranch_execz .LBB0_17
; %bb.16:
	v_mov_b32_e32 v7, 0
	s_wait_dscnt 0x0
	v_alignbit_b32 v2, s0, v18, 16
	v_lshrrev_b32_e32 v8, 16, v18
	ds_load_u16 v1, v7 offset:5122
	v_pk_add_f16 v12, v2, v18
	v_sub_f16_e32 v8, v18, v8
	s_delay_alu instid0(VALU_DEP_2)
	v_pack_b32_f16 v25, v12, 0
	s_wait_dscnt 0x0
	v_xor_b32_e32 v18, 0x8000, v1
	v_mov_b32_e32 v1, 0
	v_mov_b32_e32 v2, 0
	ds_store_b16 v7, v18 offset:5122
.LBB0_17:
	s_or_b32 exec_lo, exec_lo, s0
	v_dual_mov_b32 v12, 0 :: v_dual_add_nc_u32 v19, v24, v19
	v_lshlrev_b64_e32 v[1:2], 2, v[1:2]
	v_add_nc_u32_e32 v6, v23, v6
	v_add_nc_u32_e32 v4, v21, v4
	s_delay_alu instid0(VALU_DEP_4) | instskip(SKIP_2) | instid1(VALU_DEP_2)
	v_lshlrev_b64_e32 v[26:27], 2, v[11:12]
	s_wait_dscnt 0x0
	v_dual_mov_b32 v18, v12 :: v_dual_add_nc_u32 v5, v22, v5
	v_add_co_u32 v26, s0, s8, v26
	s_wait_alu 0xf1ff
	s_delay_alu instid0(VALU_DEP_3) | instskip(NEXT) | instid1(VALU_DEP_3)
	v_add_co_ci_u32_e64 v27, s0, s9, v27, s0
	v_lshlrev_b64_e32 v[17:18], 2, v[17:18]
	global_load_b32 v11, v[26:27], off offset:10224
	v_add_co_u32 v17, s0, s8, v17
	s_wait_alu 0xf1ff
	v_add_co_ci_u32_e64 v18, s0, s9, v18, s0
	global_load_b32 v18, v[17:18], off offset:10224
	v_mov_b32_e32 v17, v12
	s_delay_alu instid0(VALU_DEP_1) | instskip(NEXT) | instid1(VALU_DEP_1)
	v_lshlrev_b64_e32 v[16:17], 2, v[16:17]
	v_add_co_u32 v16, s0, s8, v16
	s_wait_alu 0xf1ff
	s_delay_alu instid0(VALU_DEP_2) | instskip(SKIP_2) | instid1(VALU_DEP_1)
	v_add_co_ci_u32_e64 v17, s0, s9, v17, s0
	global_load_b32 v17, v[16:17], off offset:10224
	v_mov_b32_e32 v16, v12
	v_lshlrev_b64_e32 v[15:16], 2, v[15:16]
	s_delay_alu instid0(VALU_DEP_1) | instskip(SKIP_1) | instid1(VALU_DEP_2)
	v_add_co_u32 v15, s0, s8, v15
	s_wait_alu 0xf1ff
	v_add_co_ci_u32_e64 v16, s0, s9, v16, s0
	s_add_nc_u64 s[0:1], s[8:9], 0x27f0
	s_wait_alu 0xfffe
	v_add_co_u32 v1, s0, s0, v1
	global_load_b32 v15, v[15:16], off offset:10224
	s_wait_alu 0xf1ff
	v_add_co_ci_u32_e64 v2, s0, s1, v2, s0
	global_load_b32 v16, v[1:2], off offset:2560
	ds_store_b16 v3, v7 offset:10242
	ds_store_b32 v20, v25
	ds_store_b16 v3, v8 offset:10240
	ds_load_b32 v7, v3 offset:9728
	ds_load_b32 v8, v19
	global_load_b32 v24, v[1:2], off offset:3072
	s_wait_dscnt 0x0
	v_pk_add_f16 v25, v8, v7 neg_lo:[0,1] neg_hi:[0,1]
	v_pk_add_f16 v7, v8, v7
	s_delay_alu instid0(VALU_DEP_1) | instskip(SKIP_1) | instid1(VALU_DEP_2)
	v_bfi_b32 v8, 0xffff, v25, v7
	v_bfi_b32 v7, 0xffff, v7, v25
	v_pk_mul_f16 v8, v8, 0.5 op_sel_hi:[1,0]
	s_delay_alu instid0(VALU_DEP_2) | instskip(SKIP_1) | instid1(VALU_DEP_1)
	v_pk_mul_f16 v7, v7, 0.5 op_sel_hi:[1,0]
	s_wait_loadcnt 0x5
	v_pk_fma_f16 v25, v11, v8, v7 op_sel:[1,0,0]
	v_pk_mul_f16 v26, v11, v8 op_sel_hi:[0,1]
	v_pk_fma_f16 v27, v11, v8, v7 op_sel:[1,0,0] neg_lo:[1,0,0] neg_hi:[1,0,0]
	v_pk_fma_f16 v7, v11, v8, v7 op_sel:[1,0,0] neg_lo:[0,0,1] neg_hi:[0,0,1]
	s_delay_alu instid0(VALU_DEP_3) | instskip(SKIP_1) | instid1(VALU_DEP_4)
	v_pk_add_f16 v8, v25, v26 op_sel:[0,1] op_sel_hi:[1,0]
	v_pk_add_f16 v11, v25, v26 op_sel:[0,1] op_sel_hi:[1,0] neg_lo:[0,1] neg_hi:[0,1]
	v_pk_add_f16 v25, v27, v26 op_sel:[0,1] op_sel_hi:[1,0] neg_lo:[0,1] neg_hi:[0,1]
	s_delay_alu instid0(VALU_DEP_4) | instskip(NEXT) | instid1(VALU_DEP_3)
	v_pk_add_f16 v7, v7, v26 op_sel:[0,1] op_sel_hi:[1,0] neg_lo:[0,1] neg_hi:[0,1]
	v_bfi_b32 v8, 0xffff, v8, v11
	v_lshl_or_b32 v11, v0, 2, 0xe00
	s_delay_alu instid0(VALU_DEP_3)
	v_bfi_b32 v7, 0xffff, v25, v7
	ds_store_b32 v19, v8
	ds_store_b32 v3, v7 offset:9728
	ds_load_b32 v7, v6
	ds_load_b32 v8, v3 offset:9216
	global_load_b32 v19, v11, s[8:9] offset:10224
	s_wait_dscnt 0x0
	v_pk_add_f16 v23, v7, v8 neg_lo:[0,1] neg_hi:[0,1]
	v_pk_add_f16 v7, v7, v8
	s_delay_alu instid0(VALU_DEP_1) | instskip(SKIP_1) | instid1(VALU_DEP_2)
	v_bfi_b32 v8, 0xffff, v23, v7
	v_bfi_b32 v7, 0xffff, v7, v23
	v_pk_mul_f16 v8, v8, 0.5 op_sel_hi:[1,0]
	s_delay_alu instid0(VALU_DEP_2) | instskip(SKIP_1) | instid1(VALU_DEP_2)
	v_pk_mul_f16 v7, v7, 0.5 op_sel_hi:[1,0]
	s_wait_loadcnt 0x5
	v_pk_mul_f16 v25, v18, v8 op_sel_hi:[0,1]
	s_delay_alu instid0(VALU_DEP_2) | instskip(SKIP_2) | instid1(VALU_DEP_3)
	v_pk_fma_f16 v23, v18, v8, v7 op_sel:[1,0,0]
	v_pk_fma_f16 v26, v18, v8, v7 op_sel:[1,0,0] neg_lo:[1,0,0] neg_hi:[1,0,0]
	v_pk_fma_f16 v7, v18, v8, v7 op_sel:[1,0,0] neg_lo:[0,0,1] neg_hi:[0,0,1]
	v_pk_add_f16 v8, v23, v25 op_sel:[0,1] op_sel_hi:[1,0]
	v_pk_add_f16 v18, v23, v25 op_sel:[0,1] op_sel_hi:[1,0] neg_lo:[0,1] neg_hi:[0,1]
	s_delay_alu instid0(VALU_DEP_4) | instskip(NEXT) | instid1(VALU_DEP_4)
	v_pk_add_f16 v23, v26, v25 op_sel:[0,1] op_sel_hi:[1,0] neg_lo:[0,1] neg_hi:[0,1]
	v_pk_add_f16 v7, v7, v25 op_sel:[0,1] op_sel_hi:[1,0] neg_lo:[0,1] neg_hi:[0,1]
	s_delay_alu instid0(VALU_DEP_3) | instskip(NEXT) | instid1(VALU_DEP_2)
	v_bfi_b32 v8, 0xffff, v8, v18
	v_bfi_b32 v7, 0xffff, v23, v7
	ds_store_b32 v6, v8
	ds_store_b32 v3, v7 offset:9216
	ds_load_b32 v6, v5
	ds_load_b32 v7, v3 offset:8704
	global_load_b32 v8, v[1:2], off offset:4096
	s_wait_dscnt 0x0
	v_pk_add_f16 v18, v6, v7 neg_lo:[0,1] neg_hi:[0,1]
	v_pk_add_f16 v6, v6, v7
	s_delay_alu instid0(VALU_DEP_1) | instskip(SKIP_1) | instid1(VALU_DEP_2)
	v_bfi_b32 v7, 0xffff, v18, v6
	v_bfi_b32 v6, 0xffff, v6, v18
	v_pk_mul_f16 v7, v7, 0.5 op_sel_hi:[1,0]
	s_delay_alu instid0(VALU_DEP_2) | instskip(SKIP_1) | instid1(VALU_DEP_2)
	v_pk_mul_f16 v18, v6, 0.5 op_sel_hi:[1,0]
	s_wait_loadcnt 0x5
	v_pk_mul_f16 v22, v17, v7 op_sel:[1,0]
	v_pk_mul_f16 v7, v17, v7 op_sel_hi:[0,1]
	s_delay_alu instid0(VALU_DEP_3) | instskip(NEXT) | instid1(VALU_DEP_3)
	v_lshrrev_b32_e32 v17, 16, v18
	v_lshrrev_b32_e32 v23, 16, v22
	v_pk_fma_f16 v6, v6, 0.5, v22 op_sel_hi:[1,0,1]
	v_sub_f16_e32 v18, v18, v22
	s_delay_alu instid0(VALU_DEP_3) | instskip(NEXT) | instid1(VALU_DEP_3)
	v_sub_f16_e32 v17, v23, v17
	v_pk_add_f16 v22, v6, v7 op_sel:[0,1] op_sel_hi:[1,0]
	v_pk_add_f16 v6, v6, v7 op_sel:[0,1] op_sel_hi:[1,0] neg_lo:[0,1] neg_hi:[0,1]
	v_lshrrev_b32_e32 v23, 16, v7
	s_delay_alu instid0(VALU_DEP_4) | instskip(NEXT) | instid1(VALU_DEP_3)
	v_sub_f16_e32 v7, v17, v7
	v_bfi_b32 v6, 0xffff, v22, v6
	s_delay_alu instid0(VALU_DEP_3)
	v_sub_f16_e32 v17, v18, v23
	ds_store_b16 v3, v7 offset:8706
	ds_store_b32 v5, v6
	ds_store_b16 v3, v17 offset:8704
	ds_load_b32 v5, v4
	ds_load_b32 v6, v3 offset:8192
	global_load_b32 v1, v[1:2], off offset:4608
	s_wait_dscnt 0x0
	v_pk_add_f16 v2, v5, v6 neg_lo:[0,1] neg_hi:[0,1]
	v_pk_add_f16 v5, v5, v6
	s_delay_alu instid0(VALU_DEP_1) | instskip(SKIP_1) | instid1(VALU_DEP_2)
	v_bfi_b32 v6, 0xffff, v2, v5
	v_bfi_b32 v2, 0xffff, v5, v2
	v_pk_mul_f16 v5, v6, 0.5 op_sel_hi:[1,0]
	s_delay_alu instid0(VALU_DEP_2) | instskip(SKIP_1) | instid1(VALU_DEP_2)
	v_pk_mul_f16 v2, v2, 0.5 op_sel_hi:[1,0]
	s_wait_loadcnt 0x5
	v_pk_mul_f16 v7, v15, v5 op_sel_hi:[0,1]
	s_delay_alu instid0(VALU_DEP_2) | instskip(SKIP_2) | instid1(VALU_DEP_3)
	v_pk_fma_f16 v6, v15, v5, v2 op_sel:[1,0,0]
	v_pk_fma_f16 v17, v15, v5, v2 op_sel:[1,0,0] neg_lo:[1,0,0] neg_hi:[1,0,0]
	v_pk_fma_f16 v2, v15, v5, v2 op_sel:[1,0,0] neg_lo:[0,0,1] neg_hi:[0,0,1]
	v_pk_add_f16 v5, v6, v7 op_sel:[0,1] op_sel_hi:[1,0]
	v_pk_add_f16 v6, v6, v7 op_sel:[0,1] op_sel_hi:[1,0] neg_lo:[0,1] neg_hi:[0,1]
	s_delay_alu instid0(VALU_DEP_4) | instskip(NEXT) | instid1(VALU_DEP_4)
	v_pk_add_f16 v15, v17, v7 op_sel:[0,1] op_sel_hi:[1,0] neg_lo:[0,1] neg_hi:[0,1]
	v_pk_add_f16 v2, v2, v7 op_sel:[0,1] op_sel_hi:[1,0] neg_lo:[0,1] neg_hi:[0,1]
	s_delay_alu instid0(VALU_DEP_3) | instskip(NEXT) | instid1(VALU_DEP_2)
	v_bfi_b32 v5, 0xffff, v5, v6
	v_bfi_b32 v2, 0xffff, v15, v2
	ds_store_b32 v4, v5
	ds_store_b32 v3, v2 offset:8192
	ds_load_b32 v2, v20 offset:2560
	ds_load_b32 v4, v3 offset:7680
	s_wait_dscnt 0x0
	v_pk_add_f16 v5, v2, v4 neg_lo:[0,1] neg_hi:[0,1]
	v_pk_add_f16 v2, v2, v4
	s_delay_alu instid0(VALU_DEP_1) | instskip(SKIP_1) | instid1(VALU_DEP_2)
	v_bfi_b32 v4, 0xffff, v5, v2
	v_bfi_b32 v2, 0xffff, v2, v5
	v_pk_mul_f16 v4, v4, 0.5 op_sel_hi:[1,0]
	s_delay_alu instid0(VALU_DEP_2) | instskip(SKIP_1) | instid1(VALU_DEP_2)
	v_pk_mul_f16 v5, v2, 0.5 op_sel_hi:[1,0]
	s_wait_loadcnt 0x4
	v_pk_mul_f16 v6, v16, v4 op_sel:[1,0]
	s_delay_alu instid0(VALU_DEP_2) | instskip(SKIP_1) | instid1(VALU_DEP_3)
	v_lshrrev_b32_e32 v7, 16, v5
	v_pk_mul_f16 v4, v16, v4 op_sel_hi:[0,1]
	v_lshrrev_b32_e32 v15, 16, v6
	v_pk_fma_f16 v2, v2, 0.5, v6 op_sel_hi:[1,0,1]
	v_sub_f16_e32 v5, v5, v6
	s_delay_alu instid0(VALU_DEP_3) | instskip(NEXT) | instid1(VALU_DEP_3)
	v_sub_f16_e32 v7, v15, v7
	v_pk_add_f16 v6, v2, v4 op_sel:[0,1] op_sel_hi:[1,0]
	v_pk_add_f16 v2, v2, v4 op_sel:[0,1] op_sel_hi:[1,0] neg_lo:[0,1] neg_hi:[0,1]
	v_lshrrev_b32_e32 v15, 16, v4
	s_delay_alu instid0(VALU_DEP_4) | instskip(NEXT) | instid1(VALU_DEP_3)
	v_sub_f16_e32 v4, v7, v4
	v_bfi_b32 v2, 0xffff, v6, v2
	s_delay_alu instid0(VALU_DEP_3)
	v_sub_f16_e32 v5, v5, v15
	ds_store_b16 v3, v4 offset:7682
	ds_store_b32 v20, v2 offset:2560
	ds_store_b16 v3, v5 offset:7680
	ds_load_b32 v2, v20 offset:3072
	ds_load_b32 v4, v3 offset:7168
	s_wait_dscnt 0x0
	v_pk_add_f16 v5, v2, v4 neg_lo:[0,1] neg_hi:[0,1]
	v_pk_add_f16 v2, v2, v4
	s_delay_alu instid0(VALU_DEP_1) | instskip(SKIP_1) | instid1(VALU_DEP_2)
	v_bfi_b32 v4, 0xffff, v5, v2
	v_bfi_b32 v2, 0xffff, v2, v5
	v_pk_mul_f16 v4, v4, 0.5 op_sel_hi:[1,0]
	s_delay_alu instid0(VALU_DEP_2) | instskip(SKIP_1) | instid1(VALU_DEP_2)
	v_pk_mul_f16 v5, v2, 0.5 op_sel_hi:[1,0]
	s_wait_loadcnt 0x3
	v_pk_mul_f16 v6, v24, v4 op_sel:[1,0]
	s_delay_alu instid0(VALU_DEP_2) | instskip(SKIP_1) | instid1(VALU_DEP_3)
	v_lshrrev_b32_e32 v7, 16, v5
	v_pk_mul_f16 v4, v24, v4 op_sel_hi:[0,1]
	v_lshrrev_b32_e32 v15, 16, v6
	v_pk_fma_f16 v2, v2, 0.5, v6 op_sel_hi:[1,0,1]
	v_sub_f16_e32 v5, v5, v6
	s_delay_alu instid0(VALU_DEP_3) | instskip(NEXT) | instid1(VALU_DEP_3)
	v_sub_f16_e32 v7, v15, v7
	v_pk_add_f16 v6, v2, v4 op_sel:[0,1] op_sel_hi:[1,0]
	v_pk_add_f16 v2, v2, v4 op_sel:[0,1] op_sel_hi:[1,0] neg_lo:[0,1] neg_hi:[0,1]
	v_lshrrev_b32_e32 v15, 16, v4
	s_delay_alu instid0(VALU_DEP_4) | instskip(NEXT) | instid1(VALU_DEP_3)
	v_sub_f16_e32 v4, v7, v4
	v_bfi_b32 v2, 0xffff, v6, v2
	v_add_nc_u32_e32 v6, 0, v11
	s_delay_alu instid0(VALU_DEP_4)
	v_sub_f16_e32 v5, v5, v15
	ds_store_b16 v3, v4 offset:7170
	ds_store_b32 v20, v2 offset:3072
	ds_store_b16 v3, v5 offset:7168
	ds_load_b32 v2, v6
	ds_load_b32 v4, v3 offset:6656
	s_wait_dscnt 0x0
	v_pk_add_f16 v5, v2, v4 neg_lo:[0,1] neg_hi:[0,1]
	v_pk_add_f16 v2, v2, v4
	s_delay_alu instid0(VALU_DEP_1) | instskip(SKIP_1) | instid1(VALU_DEP_2)
	v_bfi_b32 v4, 0xffff, v5, v2
	v_bfi_b32 v2, 0xffff, v2, v5
	v_pk_mul_f16 v4, v4, 0.5 op_sel_hi:[1,0]
	s_delay_alu instid0(VALU_DEP_2) | instskip(SKIP_1) | instid1(VALU_DEP_2)
	v_pk_mul_f16 v5, v2, 0.5 op_sel_hi:[1,0]
	s_wait_loadcnt 0x2
	v_pk_mul_f16 v7, v19, v4 op_sel:[1,0]
	s_delay_alu instid0(VALU_DEP_2) | instskip(SKIP_1) | instid1(VALU_DEP_3)
	v_lshrrev_b32_e32 v11, 16, v5
	v_pk_mul_f16 v4, v19, v4 op_sel_hi:[0,1]
	v_lshrrev_b32_e32 v15, 16, v7
	v_pk_fma_f16 v2, v2, 0.5, v7 op_sel_hi:[1,0,1]
	v_sub_f16_e32 v5, v5, v7
	s_delay_alu instid0(VALU_DEP_3) | instskip(NEXT) | instid1(VALU_DEP_3)
	v_sub_f16_e32 v11, v15, v11
	v_pk_add_f16 v7, v2, v4 op_sel:[0,1] op_sel_hi:[1,0]
	v_pk_add_f16 v2, v2, v4 op_sel:[0,1] op_sel_hi:[1,0] neg_lo:[0,1] neg_hi:[0,1]
	v_lshrrev_b32_e32 v15, 16, v4
	s_delay_alu instid0(VALU_DEP_4) | instskip(NEXT) | instid1(VALU_DEP_3)
	v_sub_f16_e32 v4, v11, v4
	v_bfi_b32 v2, 0xffff, v7, v2
	s_delay_alu instid0(VALU_DEP_3)
	v_sub_f16_e32 v5, v5, v15
	ds_store_b16 v3, v4 offset:6658
	ds_store_b32 v6, v2
	ds_store_b16 v3, v5 offset:6656
	ds_load_b32 v2, v20 offset:4096
	ds_load_b32 v4, v3 offset:6144
	s_wait_dscnt 0x0
	v_pk_add_f16 v5, v2, v4 neg_lo:[0,1] neg_hi:[0,1]
	v_pk_add_f16 v2, v2, v4
	s_delay_alu instid0(VALU_DEP_1) | instskip(SKIP_1) | instid1(VALU_DEP_2)
	v_bfi_b32 v4, 0xffff, v5, v2
	v_bfi_b32 v2, 0xffff, v2, v5
	v_pk_mul_f16 v4, v4, 0.5 op_sel_hi:[1,0]
	s_delay_alu instid0(VALU_DEP_2) | instskip(SKIP_1) | instid1(VALU_DEP_2)
	v_pk_mul_f16 v2, v2, 0.5 op_sel_hi:[1,0]
	s_wait_loadcnt 0x1
	v_pk_mul_f16 v6, v8, v4 op_sel_hi:[0,1]
	s_delay_alu instid0(VALU_DEP_2) | instskip(SKIP_2) | instid1(VALU_DEP_3)
	v_pk_fma_f16 v5, v8, v4, v2 op_sel:[1,0,0]
	v_pk_fma_f16 v7, v8, v4, v2 op_sel:[1,0,0] neg_lo:[1,0,0] neg_hi:[1,0,0]
	v_pk_fma_f16 v2, v8, v4, v2 op_sel:[1,0,0] neg_lo:[0,0,1] neg_hi:[0,0,1]
	v_pk_add_f16 v4, v5, v6 op_sel:[0,1] op_sel_hi:[1,0]
	v_pk_add_f16 v5, v5, v6 op_sel:[0,1] op_sel_hi:[1,0] neg_lo:[0,1] neg_hi:[0,1]
	s_delay_alu instid0(VALU_DEP_4) | instskip(NEXT) | instid1(VALU_DEP_4)
	v_pk_add_f16 v7, v7, v6 op_sel:[0,1] op_sel_hi:[1,0] neg_lo:[0,1] neg_hi:[0,1]
	v_pk_add_f16 v2, v2, v6 op_sel:[0,1] op_sel_hi:[1,0] neg_lo:[0,1] neg_hi:[0,1]
	s_delay_alu instid0(VALU_DEP_3) | instskip(NEXT) | instid1(VALU_DEP_2)
	v_bfi_b32 v4, 0xffff, v4, v5
	v_bfi_b32 v2, 0xffff, v7, v2
	ds_store_b32 v20, v4 offset:4096
	ds_store_b32 v3, v2 offset:6144
	ds_load_b32 v2, v20 offset:4608
	ds_load_b32 v4, v3 offset:5632
	s_wait_dscnt 0x0
	v_pk_add_f16 v5, v2, v4 neg_lo:[0,1] neg_hi:[0,1]
	v_pk_add_f16 v2, v2, v4
	s_delay_alu instid0(VALU_DEP_1) | instskip(SKIP_1) | instid1(VALU_DEP_2)
	v_bfi_b32 v4, 0xffff, v5, v2
	v_bfi_b32 v2, 0xffff, v2, v5
	v_pk_mul_f16 v4, v4, 0.5 op_sel_hi:[1,0]
	s_delay_alu instid0(VALU_DEP_2) | instskip(SKIP_1) | instid1(VALU_DEP_2)
	v_pk_mul_f16 v5, v2, 0.5 op_sel_hi:[1,0]
	s_wait_loadcnt 0x0
	v_pk_mul_f16 v6, v1, v4 op_sel:[1,0]
	v_pk_mul_f16 v1, v1, v4 op_sel_hi:[0,1]
	s_delay_alu instid0(VALU_DEP_3) | instskip(NEXT) | instid1(VALU_DEP_3)
	v_lshrrev_b32_e32 v4, 16, v5
	v_lshrrev_b32_e32 v7, 16, v6
	v_pk_fma_f16 v2, v2, 0.5, v6 op_sel_hi:[1,0,1]
	v_sub_f16_e32 v5, v5, v6
	s_delay_alu instid0(VALU_DEP_3) | instskip(NEXT) | instid1(VALU_DEP_3)
	v_sub_f16_e32 v4, v7, v4
	v_pk_add_f16 v6, v2, v1 op_sel:[0,1] op_sel_hi:[1,0]
	v_pk_add_f16 v2, v2, v1 op_sel:[0,1] op_sel_hi:[1,0] neg_lo:[0,1] neg_hi:[0,1]
	v_lshrrev_b32_e32 v7, 16, v1
	s_delay_alu instid0(VALU_DEP_4) | instskip(NEXT) | instid1(VALU_DEP_3)
	v_sub_f16_e32 v1, v4, v1
	v_bfi_b32 v2, 0xffff, v6, v2
	s_delay_alu instid0(VALU_DEP_3)
	v_sub_f16_e32 v4, v5, v7
	ds_store_b16 v3, v1 offset:5634
	ds_store_b32 v20, v2 offset:4608
	ds_store_b16 v3, v4 offset:5632
	global_wb scope:SCOPE_SE
	s_wait_dscnt 0x0
	s_barrier_signal -1
	s_barrier_wait -1
	global_inv scope:SCOPE_SE
	s_and_saveexec_b32 s0, vcc_lo
	s_cbranch_execz .LBB0_20
; %bb.18:
	v_mul_lo_u32 v1, s3, v13
	v_mul_lo_u32 v4, s2, v14
	v_mad_co_u64_u32 v[2:3], null, s2, v13, 0
	v_add_nc_u32_e32 v11, 0x80, v0
	v_lshl_add_u32 v33, v0, 2, 0
	s_delay_alu instid0(VALU_DEP_2) | instskip(NEXT) | instid1(VALU_DEP_4)
	v_lshlrev_b64_e32 v[13:14], 2, v[11:12]
	v_add3_u32 v3, v3, v4, v1
	v_add_nc_u32_e32 v11, 0x100, v0
	v_mov_b32_e32 v1, v12
	v_lshlrev_b64_e32 v[4:5], 2, v[9:10]
	ds_load_2addr_stride64_b32 v[6:7], v33 offset1:2
	v_lshlrev_b64_e32 v[2:3], 2, v[2:3]
	v_lshlrev_b64_e32 v[15:16], 2, v[11:12]
	v_add_nc_u32_e32 v11, 0x180, v0
	v_lshlrev_b64_e32 v[8:9], 2, v[0:1]
	ds_load_2addr_stride64_b32 v[21:22], v33 offset0:8 offset1:10
	ds_load_2addr_stride64_b32 v[25:26], v33 offset0:12 offset1:14
	v_add_co_u32 v1, vcc_lo, s6, v2
	s_wait_alu 0xfffd
	v_add_co_ci_u32_e32 v2, vcc_lo, s7, v3, vcc_lo
	v_lshlrev_b64_e32 v[17:18], 2, v[11:12]
	v_add_nc_u32_e32 v11, 0x200, v0
	v_add_co_u32 v1, vcc_lo, v1, v4
	s_wait_alu 0xfffd
	v_add_co_ci_u32_e32 v2, vcc_lo, v2, v5, vcc_lo
	s_delay_alu instid0(VALU_DEP_3)
	v_lshlrev_b64_e32 v[19:20], 2, v[11:12]
	v_add_nc_u32_e32 v11, 0x280, v0
	v_add_co_u32 v3, vcc_lo, v1, v8
	s_wait_alu 0xfffd
	v_add_co_ci_u32_e32 v4, vcc_lo, v2, v9, vcc_lo
	v_add_co_u32 v8, vcc_lo, v1, v13
	v_lshlrev_b64_e32 v[23:24], 2, v[11:12]
	v_add_nc_u32_e32 v11, 0x300, v0
	s_wait_alu 0xfffd
	v_add_co_ci_u32_e32 v9, vcc_lo, v2, v14, vcc_lo
	ds_load_2addr_stride64_b32 v[13:14], v33 offset0:4 offset1:6
	v_add_co_u32 v15, vcc_lo, v1, v15
	s_wait_alu 0xfffd
	v_add_co_ci_u32_e32 v16, vcc_lo, v2, v16, vcc_lo
	v_lshlrev_b64_e32 v[27:28], 2, v[11:12]
	v_add_nc_u32_e32 v11, 0x380, v0
	v_add_co_u32 v17, vcc_lo, v1, v17
	s_wait_alu 0xfffd
	v_add_co_ci_u32_e32 v18, vcc_lo, v2, v18, vcc_lo
	v_add_co_u32 v19, vcc_lo, v1, v19
	v_lshlrev_b64_e32 v[29:30], 2, v[11:12]
	v_add_nc_u32_e32 v11, 0x400, v0
	s_wait_alu 0xfffd
	v_add_co_ci_u32_e32 v20, vcc_lo, v2, v20, vcc_lo
	v_add_co_u32 v23, vcc_lo, v1, v23
	s_wait_alu 0xfffd
	v_add_co_ci_u32_e32 v24, vcc_lo, v2, v24, vcc_lo
	v_add_co_u32 v27, vcc_lo, v1, v27
	v_lshlrev_b64_e32 v[31:32], 2, v[11:12]
	v_add_nc_u32_e32 v11, 0x480, v0
	s_wait_alu 0xfffd
	v_add_co_ci_u32_e32 v28, vcc_lo, v2, v28, vcc_lo
	v_add_co_u32 v29, vcc_lo, v1, v29
	s_wait_alu 0xfffd
	v_add_co_ci_u32_e32 v30, vcc_lo, v2, v30, vcc_lo
	s_wait_dscnt 0x3
	s_clause 0x1
	global_store_b32 v[3:4], v6, off
	global_store_b32 v[8:9], v7, off
	s_wait_dscnt 0x0
	s_clause 0x5
	global_store_b32 v[15:16], v13, off
	global_store_b32 v[17:18], v14, off
	global_store_b32 v[19:20], v21, off
	global_store_b32 v[23:24], v22, off
	global_store_b32 v[27:28], v25, off
	global_store_b32 v[29:30], v26, off
	v_lshlrev_b64_e32 v[5:6], 2, v[11:12]
	v_add_nc_u32_e32 v11, 0x500, v0
	v_add_co_u32 v7, vcc_lo, v1, v31
	s_wait_alu 0xfffd
	v_add_co_ci_u32_e32 v8, vcc_lo, v2, v32, vcc_lo
	s_delay_alu instid0(VALU_DEP_3)
	v_lshlrev_b64_e32 v[9:10], 2, v[11:12]
	v_add_nc_u32_e32 v11, 0x580, v0
	ds_load_2addr_stride64_b32 v[3:4], v33 offset0:16 offset1:18
	v_add_co_u32 v5, vcc_lo, v1, v5
	s_wait_alu 0xfffd
	v_add_co_ci_u32_e32 v6, vcc_lo, v2, v6, vcc_lo
	v_lshlrev_b64_e32 v[15:16], 2, v[11:12]
	v_add_nc_u32_e32 v11, 0x600, v0
	ds_load_2addr_stride64_b32 v[13:14], v33 offset0:20 offset1:22
	v_add_co_u32 v9, vcc_lo, v1, v9
	ds_load_2addr_stride64_b32 v[19:20], v33 offset0:24 offset1:26
	v_lshlrev_b64_e32 v[17:18], 2, v[11:12]
	v_add_nc_u32_e32 v11, 0x680, v0
	s_wait_alu 0xfffd
	v_add_co_ci_u32_e32 v10, vcc_lo, v2, v10, vcc_lo
	v_add_co_u32 v15, vcc_lo, v1, v15
	s_delay_alu instid0(VALU_DEP_3)
	v_lshlrev_b64_e32 v[21:22], 2, v[11:12]
	v_add_nc_u32_e32 v11, 0x700, v0
	ds_load_2addr_stride64_b32 v[23:24], v33 offset0:28 offset1:30
	s_wait_alu 0xfffd
	v_add_co_ci_u32_e32 v16, vcc_lo, v2, v16, vcc_lo
	v_add_co_u32 v17, vcc_lo, v1, v17
	v_lshlrev_b64_e32 v[25:26], 2, v[11:12]
	v_add_nc_u32_e32 v11, 0x780, v0
	s_wait_alu 0xfffd
	v_add_co_ci_u32_e32 v18, vcc_lo, v2, v18, vcc_lo
	v_add_co_u32 v21, vcc_lo, v1, v21
	s_delay_alu instid0(VALU_DEP_3) | instskip(SKIP_4) | instid1(VALU_DEP_3)
	v_lshlrev_b64_e32 v[27:28], 2, v[11:12]
	v_add_nc_u32_e32 v11, 0x800, v0
	s_wait_alu 0xfffd
	v_add_co_ci_u32_e32 v22, vcc_lo, v2, v22, vcc_lo
	v_add_co_u32 v25, vcc_lo, v1, v25
	v_lshlrev_b64_e32 v[29:30], 2, v[11:12]
	v_add_nc_u32_e32 v11, 0x880, v0
	s_wait_alu 0xfffd
	v_add_co_ci_u32_e32 v26, vcc_lo, v2, v26, vcc_lo
	v_add_co_u32 v27, vcc_lo, v1, v27
	s_wait_alu 0xfffd
	v_add_co_ci_u32_e32 v28, vcc_lo, v2, v28, vcc_lo
	s_wait_dscnt 0x3
	s_clause 0x1
	global_store_b32 v[7:8], v3, off
	global_store_b32 v[5:6], v4, off
	s_wait_dscnt 0x2
	s_clause 0x1
	global_store_b32 v[9:10], v13, off
	global_store_b32 v[15:16], v14, off
	;; [unrolled: 4-line block ×4, first 2 shown]
	v_lshlrev_b64_e32 v[5:6], 2, v[11:12]
	v_add_nc_u32_e32 v11, 0x900, v0
	ds_load_2addr_stride64_b32 v[3:4], v33 offset0:32 offset1:34
	ds_load_2addr_stride64_b32 v[7:8], v33 offset0:36 offset1:38
	v_add_co_u32 v9, vcc_lo, v1, v29
	v_lshlrev_b64_e32 v[13:14], 2, v[11:12]
	v_add_nc_u32_e32 v11, 0x980, v0
	s_wait_alu 0xfffd
	v_add_co_ci_u32_e32 v10, vcc_lo, v2, v30, vcc_lo
	v_add_co_u32 v5, vcc_lo, v1, v5
	s_delay_alu instid0(VALU_DEP_3)
	v_lshlrev_b64_e32 v[11:12], 2, v[11:12]
	s_wait_alu 0xfffd
	v_add_co_ci_u32_e32 v6, vcc_lo, v2, v6, vcc_lo
	v_add_co_u32 v13, vcc_lo, v1, v13
	s_wait_alu 0xfffd
	v_add_co_ci_u32_e32 v14, vcc_lo, v2, v14, vcc_lo
	v_add_co_u32 v11, vcc_lo, v1, v11
	s_wait_alu 0xfffd
	v_add_co_ci_u32_e32 v12, vcc_lo, v2, v12, vcc_lo
	v_cmp_eq_u32_e32 vcc_lo, 0x7f, v0
	s_wait_dscnt 0x1
	s_clause 0x1
	global_store_b32 v[9:10], v3, off
	global_store_b32 v[5:6], v4, off
	s_wait_dscnt 0x0
	s_clause 0x1
	global_store_b32 v[13:14], v7, off
	global_store_b32 v[11:12], v8, off
	s_and_b32 exec_lo, exec_lo, vcc_lo
	s_cbranch_execz .LBB0_20
; %bb.19:
	v_mov_b32_e32 v0, 0
	ds_load_b32 v0, v0 offset:10240
	s_wait_dscnt 0x0
	global_store_b32 v[1:2], v0, off offset:10240
.LBB0_20:
	s_nop 0
	s_sendmsg sendmsg(MSG_DEALLOC_VGPRS)
	s_endpgm
	.section	.rodata,"a",@progbits
	.p2align	6, 0x0
	.amdhsa_kernel fft_rtc_back_len2560_factors_4_4_4_10_4_wgs_128_tpt_128_halfLds_half_op_CI_CI_unitstride_sbrr_R2C_dirReg
		.amdhsa_group_segment_fixed_size 0
		.amdhsa_private_segment_fixed_size 0
		.amdhsa_kernarg_size 104
		.amdhsa_user_sgpr_count 2
		.amdhsa_user_sgpr_dispatch_ptr 0
		.amdhsa_user_sgpr_queue_ptr 0
		.amdhsa_user_sgpr_kernarg_segment_ptr 1
		.amdhsa_user_sgpr_dispatch_id 0
		.amdhsa_user_sgpr_private_segment_size 0
		.amdhsa_wavefront_size32 1
		.amdhsa_uses_dynamic_stack 0
		.amdhsa_enable_private_segment 0
		.amdhsa_system_sgpr_workgroup_id_x 1
		.amdhsa_system_sgpr_workgroup_id_y 0
		.amdhsa_system_sgpr_workgroup_id_z 0
		.amdhsa_system_sgpr_workgroup_info 0
		.amdhsa_system_vgpr_workitem_id 0
		.amdhsa_next_free_vgpr 114
		.amdhsa_next_free_sgpr 39
		.amdhsa_reserve_vcc 1
		.amdhsa_float_round_mode_32 0
		.amdhsa_float_round_mode_16_64 0
		.amdhsa_float_denorm_mode_32 3
		.amdhsa_float_denorm_mode_16_64 3
		.amdhsa_fp16_overflow 0
		.amdhsa_workgroup_processor_mode 1
		.amdhsa_memory_ordered 1
		.amdhsa_forward_progress 0
		.amdhsa_round_robin_scheduling 0
		.amdhsa_exception_fp_ieee_invalid_op 0
		.amdhsa_exception_fp_denorm_src 0
		.amdhsa_exception_fp_ieee_div_zero 0
		.amdhsa_exception_fp_ieee_overflow 0
		.amdhsa_exception_fp_ieee_underflow 0
		.amdhsa_exception_fp_ieee_inexact 0
		.amdhsa_exception_int_div_zero 0
	.end_amdhsa_kernel
	.text
.Lfunc_end0:
	.size	fft_rtc_back_len2560_factors_4_4_4_10_4_wgs_128_tpt_128_halfLds_half_op_CI_CI_unitstride_sbrr_R2C_dirReg, .Lfunc_end0-fft_rtc_back_len2560_factors_4_4_4_10_4_wgs_128_tpt_128_halfLds_half_op_CI_CI_unitstride_sbrr_R2C_dirReg
                                        ; -- End function
	.section	.AMDGPU.csdata,"",@progbits
; Kernel info:
; codeLenInByte = 13700
; NumSgprs: 41
; NumVgprs: 114
; ScratchSize: 0
; MemoryBound: 0
; FloatMode: 240
; IeeeMode: 1
; LDSByteSize: 0 bytes/workgroup (compile time only)
; SGPRBlocks: 5
; VGPRBlocks: 14
; NumSGPRsForWavesPerEU: 41
; NumVGPRsForWavesPerEU: 114
; Occupancy: 12
; WaveLimiterHint : 1
; COMPUTE_PGM_RSRC2:SCRATCH_EN: 0
; COMPUTE_PGM_RSRC2:USER_SGPR: 2
; COMPUTE_PGM_RSRC2:TRAP_HANDLER: 0
; COMPUTE_PGM_RSRC2:TGID_X_EN: 1
; COMPUTE_PGM_RSRC2:TGID_Y_EN: 0
; COMPUTE_PGM_RSRC2:TGID_Z_EN: 0
; COMPUTE_PGM_RSRC2:TIDIG_COMP_CNT: 0
	.text
	.p2alignl 7, 3214868480
	.fill 96, 4, 3214868480
	.type	__hip_cuid_7341fc42fb1f92a3,@object ; @__hip_cuid_7341fc42fb1f92a3
	.section	.bss,"aw",@nobits
	.globl	__hip_cuid_7341fc42fb1f92a3
__hip_cuid_7341fc42fb1f92a3:
	.byte	0                               ; 0x0
	.size	__hip_cuid_7341fc42fb1f92a3, 1

	.ident	"AMD clang version 19.0.0git (https://github.com/RadeonOpenCompute/llvm-project roc-6.4.0 25133 c7fe45cf4b819c5991fe208aaa96edf142730f1d)"
	.section	".note.GNU-stack","",@progbits
	.addrsig
	.addrsig_sym __hip_cuid_7341fc42fb1f92a3
	.amdgpu_metadata
---
amdhsa.kernels:
  - .args:
      - .actual_access:  read_only
        .address_space:  global
        .offset:         0
        .size:           8
        .value_kind:     global_buffer
      - .offset:         8
        .size:           8
        .value_kind:     by_value
      - .actual_access:  read_only
        .address_space:  global
        .offset:         16
        .size:           8
        .value_kind:     global_buffer
      - .actual_access:  read_only
        .address_space:  global
        .offset:         24
        .size:           8
        .value_kind:     global_buffer
      - .actual_access:  read_only
        .address_space:  global
        .offset:         32
        .size:           8
        .value_kind:     global_buffer
      - .offset:         40
        .size:           8
        .value_kind:     by_value
      - .actual_access:  read_only
        .address_space:  global
        .offset:         48
        .size:           8
        .value_kind:     global_buffer
      - .actual_access:  read_only
        .address_space:  global
        .offset:         56
        .size:           8
        .value_kind:     global_buffer
      - .offset:         64
        .size:           4
        .value_kind:     by_value
      - .actual_access:  read_only
        .address_space:  global
        .offset:         72
        .size:           8
        .value_kind:     global_buffer
      - .actual_access:  read_only
        .address_space:  global
        .offset:         80
        .size:           8
        .value_kind:     global_buffer
      - .actual_access:  read_only
        .address_space:  global
        .offset:         88
        .size:           8
        .value_kind:     global_buffer
      - .actual_access:  write_only
        .address_space:  global
        .offset:         96
        .size:           8
        .value_kind:     global_buffer
    .group_segment_fixed_size: 0
    .kernarg_segment_align: 8
    .kernarg_segment_size: 104
    .language:       OpenCL C
    .language_version:
      - 2
      - 0
    .max_flat_workgroup_size: 128
    .name:           fft_rtc_back_len2560_factors_4_4_4_10_4_wgs_128_tpt_128_halfLds_half_op_CI_CI_unitstride_sbrr_R2C_dirReg
    .private_segment_fixed_size: 0
    .sgpr_count:     41
    .sgpr_spill_count: 0
    .symbol:         fft_rtc_back_len2560_factors_4_4_4_10_4_wgs_128_tpt_128_halfLds_half_op_CI_CI_unitstride_sbrr_R2C_dirReg.kd
    .uniform_work_group_size: 1
    .uses_dynamic_stack: false
    .vgpr_count:     114
    .vgpr_spill_count: 0
    .wavefront_size: 32
    .workgroup_processor_mode: 1
amdhsa.target:   amdgcn-amd-amdhsa--gfx1201
amdhsa.version:
  - 1
  - 2
...

	.end_amdgpu_metadata
